;; amdgpu-corpus repo=ROCm/rocFFT kind=compiled arch=gfx1100 opt=O3
	.text
	.amdgcn_target "amdgcn-amd-amdhsa--gfx1100"
	.amdhsa_code_object_version 6
	.protected	bluestein_single_fwd_len3240_dim1_half_op_CI_CI ; -- Begin function bluestein_single_fwd_len3240_dim1_half_op_CI_CI
	.globl	bluestein_single_fwd_len3240_dim1_half_op_CI_CI
	.p2align	8
	.type	bluestein_single_fwd_len3240_dim1_half_op_CI_CI,@function
bluestein_single_fwd_len3240_dim1_half_op_CI_CI: ; @bluestein_single_fwd_len3240_dim1_half_op_CI_CI
; %bb.0:
	s_load_b128 s[16:19], s[0:1], 0x28
	v_mul_u32_u24_e32 v1, 0x25f, v0
	s_mov_b32 s2, exec_lo
	v_mov_b32_e32 v3, 0
	s_delay_alu instid0(VALU_DEP_2) | instskip(NEXT) | instid1(VALU_DEP_1)
	v_lshrrev_b32_e32 v1, 16, v1
	v_add_nc_u32_e32 v2, s15, v1
	s_waitcnt lgkmcnt(0)
	s_delay_alu instid0(VALU_DEP_1)
	v_cmpx_gt_u64_e64 s[16:17], v[2:3]
	s_cbranch_execz .LBB0_2
; %bb.1:
	s_clause 0x1
	s_load_b128 s[8:11], s[0:1], 0x18
	s_load_b128 s[4:7], s[0:1], 0x0
	v_mul_lo_u16 v1, 0x6c, v1
	s_load_b64 s[0:1], s[0:1], 0x38
	s_delay_alu instid0(VALU_DEP_1)
	v_sub_nc_u16 v28, v0, v1
	s_waitcnt lgkmcnt(0)
	s_load_b128 s[12:15], s[8:9], 0x0
	s_waitcnt lgkmcnt(0)
	v_mad_u64_u32 v[4:5], null, s14, v2, 0
	v_and_b32_e32 v153, 0xffff, v28
	s_mul_i32 s3, s13, 0x10e0
	s_mul_hi_u32 s8, s12, 0x10e0
	s_mul_hi_u32 s9, s12, 0xffffdff0
	s_add_i32 s3, s8, s3
	s_mul_i32 s8, s13, 0xffffdff0
	s_delay_alu instid0(VALU_DEP_2) | instskip(SKIP_1) | instid1(VALU_DEP_1)
	v_mov_b32_e32 v0, v5
	v_mad_u64_u32 v[6:7], null, s12, v153, 0
	v_dual_mov_b32 v1, v7 :: v_dual_lshlrev_b32 v154, 2, v153
	v_mov_b32_e32 v5, v2
	s_delay_alu instid0(VALU_DEP_2) | instskip(NEXT) | instid1(VALU_DEP_1)
	v_add_co_u32 v163, s2, s4, v154
	v_add_co_ci_u32_e64 v164, null, s5, 0, s2
	s_delay_alu instid0(VALU_DEP_3)
	v_mad_u64_u32 v[2:3], null, s15, v5, v[0:1]
	scratch_store_b64 off, v[5:6], off offset:216 ; 8-byte Folded Spill
	v_add_co_u32 v0, vcc_lo, 0x1000, v163
	s_mul_i32 s2, s12, 0x10e0
	v_add_nc_u32_e32 v240, 0x200, v154
	v_dual_mov_b32 v5, v2 :: v_dual_add_nc_u32 v138, 0x1400, v154
	v_mad_u64_u32 v[7:8], null, s13, v153, v[1:2]
	v_add_co_ci_u32_e32 v1, vcc_lo, 0, v164, vcc_lo
	s_delay_alu instid0(VALU_DEP_3) | instskip(SKIP_3) | instid1(VALU_DEP_4)
	v_lshlrev_b64 v[4:5], 2, v[4:5]
	v_add_co_u32 v2, vcc_lo, 0x2000, v163
	v_add_co_ci_u32_e32 v3, vcc_lo, 0, v164, vcc_lo
	v_lshlrev_b64 v[6:7], 2, v[6:7]
	v_add_co_u32 v4, vcc_lo, s18, v4
	v_add_co_ci_u32_e32 v5, vcc_lo, s19, v5, vcc_lo
	s_clause 0x3
	global_load_b32 v57, v154, s[4:5]
	global_load_b32 v56, v154, s[4:5] offset:432
	global_load_b32 v55, v[0:1], off offset:224
	global_load_b32 v53, v[2:3], off offset:448
	v_add_co_u32 v4, vcc_lo, v4, v6
	v_add_co_ci_u32_e32 v5, vcc_lo, v5, v7, vcc_lo
	s_sub_i32 s13, s9, s12
	s_mul_i32 s9, s12, 0xffffdff0
	s_add_i32 s8, s13, s8
	global_load_b32 v10, v[4:5], off
	v_add_co_u32 v4, vcc_lo, v4, s2
	v_add_co_ci_u32_e32 v5, vcc_lo, s3, v5, vcc_lo
	global_load_b32 v54, v[0:1], off offset:656
	v_add_co_u32 v6, vcc_lo, v4, s2
	v_add_co_ci_u32_e32 v7, vcc_lo, s3, v5, vcc_lo
	global_load_b32 v11, v[4:5], off
	v_add_nc_u32_e32 v241, 0x600, v154
	v_add_nc_u32_e32 v228, 0x2800, v154
	global_load_b32 v8, v[6:7], off
	v_add_co_u32 v4, vcc_lo, v6, s9
	v_add_co_ci_u32_e32 v5, vcc_lo, s8, v7, vcc_lo
	v_add_nc_u32_e32 v126, 0x800, v154
	s_delay_alu instid0(VALU_DEP_3) | instskip(NEXT) | instid1(VALU_DEP_3)
	v_add_co_u32 v6, vcc_lo, v4, s2
	v_add_co_ci_u32_e32 v7, vcc_lo, s3, v5, vcc_lo
	global_load_b32 v9, v[4:5], off
	v_add_co_u32 v4, vcc_lo, v6, s2
	v_add_co_ci_u32_e32 v5, vcc_lo, s3, v7, vcc_lo
	global_load_b32 v6, v[6:7], off
	v_add_co_u32 v13, vcc_lo, v4, s9
	v_add_co_ci_u32_e32 v14, vcc_lo, s8, v5, vcc_lo
	v_add_nc_u32_e32 v133, 0x1600, v154
	s_delay_alu instid0(VALU_DEP_3) | instskip(NEXT) | instid1(VALU_DEP_3)
	v_add_co_u32 v15, vcc_lo, v13, s2
	v_add_co_ci_u32_e32 v16, vcc_lo, s3, v14, vcc_lo
	global_load_b32 v48, v[0:1], off offset:1088
	global_load_b32 v12, v[15:16], off
	s_clause 0x2
	global_load_b32 v50, v154, s[4:5] offset:864
	global_load_b32 v52, v[2:3], off offset:880
	global_load_b32 v49, v[2:3], off offset:1312
	global_load_b32 v7, v[4:5], off
	v_add_co_u32 v15, vcc_lo, v15, s2
	v_add_co_ci_u32_e32 v16, vcc_lo, s3, v16, vcc_lo
	global_load_b32 v5, v[15:16], off
	global_load_b32 v4, v[13:14], off
	v_add_co_u32 v13, vcc_lo, v15, s9
	v_add_co_ci_u32_e32 v14, vcc_lo, s8, v16, vcc_lo
	global_load_b32 v51, v154, s[4:5] offset:1296
	global_load_b32 v19, v[13:14], off
	v_add_co_u32 v13, vcc_lo, v13, s2
	v_add_co_ci_u32_e32 v14, vcc_lo, s3, v14, vcc_lo
	global_load_b32 v47, v[0:1], off offset:1520
	v_add_co_u32 v15, vcc_lo, v13, s2
	v_add_co_ci_u32_e32 v16, vcc_lo, s3, v14, vcc_lo
	global_load_b32 v20, v[13:14], off
	v_add_co_u32 v13, vcc_lo, v15, s9
	v_add_co_ci_u32_e32 v14, vcc_lo, s8, v16, vcc_lo
	v_add_nc_u32_e32 v88, 0x1a00, v154
	s_delay_alu instid0(VALU_DEP_3) | instskip(NEXT) | instid1(VALU_DEP_3)
	v_add_co_u32 v17, vcc_lo, v13, s2
	v_add_co_ci_u32_e32 v18, vcc_lo, s3, v14, vcc_lo
	global_load_b32 v44, v[0:1], off offset:1952
	global_load_b32 v21, v[17:18], off
	global_load_b32 v46, v[2:3], off offset:1744
	global_load_b32 v22, v[15:16], off
	v_add_co_u32 v15, vcc_lo, v17, s2
	v_add_co_ci_u32_e32 v16, vcc_lo, s3, v18, vcc_lo
	global_load_b32 v43, v[2:3], off offset:2176
	global_load_b32 v23, v[15:16], off
	global_load_b32 v45, v154, s[4:5] offset:1728
	global_load_b32 v24, v[13:14], off
	v_add_co_u32 v13, vcc_lo, v15, s9
	v_add_co_ci_u32_e32 v14, vcc_lo, s8, v16, vcc_lo
	global_load_b32 v42, v154, s[4:5] offset:2160
	global_load_b32 v25, v[13:14], off
	v_add_co_u32 v13, vcc_lo, v13, s2
	v_add_co_ci_u32_e32 v14, vcc_lo, s3, v14, vcc_lo
	global_load_b32 v41, v[0:1], off offset:2384
	global_load_b32 v26, v[13:14], off
	v_add_co_u32 v13, vcc_lo, v13, s2
	v_add_co_ci_u32_e32 v14, vcc_lo, s3, v14, vcc_lo
	v_add_nc_u32_e32 v82, 0xc00, v154
	s_delay_alu instid0(VALU_DEP_3) | instskip(NEXT) | instid1(VALU_DEP_3)
	v_add_co_u32 v15, vcc_lo, v13, s9
	v_add_co_ci_u32_e32 v16, vcc_lo, s8, v14, vcc_lo
	v_add_nc_u32_e32 v162, 0x1000, v154
	s_delay_alu instid0(VALU_DEP_3) | instskip(NEXT) | instid1(VALU_DEP_3)
	v_add_co_u32 v17, vcc_lo, v15, s2
	v_add_co_ci_u32_e32 v18, vcc_lo, s3, v16, vcc_lo
	global_load_b32 v38, v[0:1], off offset:2816
	global_load_b32 v27, v[17:18], off
	global_load_b32 v40, v[2:3], off offset:2608
	global_load_b32 v29, v[13:14], off
	v_add_co_u32 v13, vcc_lo, v17, s2
	v_add_co_ci_u32_e32 v14, vcc_lo, s3, v18, vcc_lo
	global_load_b32 v37, v[2:3], off offset:3040
	global_load_b32 v17, v[13:14], off
	s_clause 0x3
	global_load_b32 v39, v154, s[4:5] offset:2592
	global_load_b32 v36, v154, s[4:5] offset:3024
	global_load_b32 v35, v[0:1], off offset:3248
	global_load_b32 v34, v[2:3], off offset:16
	v_add_co_u32 v13, vcc_lo, v13, s9
	v_add_co_ci_u32_e32 v14, vcc_lo, s8, v14, vcc_lo
	v_add_nc_u32_e32 v161, 0x2000, v154
	v_add_nc_u32_e32 v150, 0x2400, v154
	;; [unrolled: 1-line block ×5, first 2 shown]
	s_waitcnt vmcnt(43)
	v_lshrrev_b32_e32 v31, 16, v57
	scratch_store_b32 off, v57, off offset:244 ; 4-byte Folded Spill
	s_waitcnt vmcnt(41)
	v_lshrrev_b32_e32 v59, 16, v55
	s_clause 0x1
	scratch_store_b32 off, v31, off offset:240
	scratch_store_b32 off, v55, off offset:236
	s_waitcnt vmcnt(40)
	v_lshrrev_b32_e32 v58, 16, v53
	s_clause 0x1
	scratch_store_b32 off, v53, off offset:212
	scratch_store_b32 off, v56, off offset:224
	s_waitcnt vmcnt(39)
	v_lshrrev_b32_e32 v18, 16, v10
	v_mul_f16_e32 v30, v31, v10
	s_delay_alu instid0(VALU_DEP_2) | instskip(NEXT) | instid1(VALU_DEP_2)
	v_mul_f16_e32 v31, v31, v18
	v_fma_f16 v18, v57, v18, -v30
	s_waitcnt vmcnt(37)
	v_lshrrev_b32_e32 v32, 16, v11
	v_mul_f16_e32 v33, v59, v11
	v_fmac_f16_e32 v31, v57, v10
	v_lshrrev_b32_e32 v57, 16, v56
	scratch_store_b32 off, v59, off offset:232 ; 4-byte Folded Spill
	v_mul_f16_e32 v10, v59, v32
	v_fma_f16 v30, v55, v32, -v33
	s_waitcnt vmcnt(36)
	v_lshrrev_b32_e32 v32, 16, v8
	scratch_store_b32 off, v57, off offset:228 ; 4-byte Folded Spill
	v_mul_f16_e32 v33, v58, v8
	v_fmac_f16_e32 v10, v55, v11
	v_pack_b32_f16 v18, v31, v18
	v_mul_f16_e32 v11, v58, v32
	s_delay_alu instid0(VALU_DEP_4)
	v_fma_f16 v31, v53, v32, -v33
	s_waitcnt vmcnt(35)
	v_lshrrev_b32_e32 v32, 16, v9
	v_mul_f16_e32 v33, v57, v9
	v_fmac_f16_e32 v11, v53, v8
	v_lshrrev_b32_e32 v53, 16, v54
	v_pack_b32_f16 v8, v10, v30
	v_mul_f16_e32 v30, v57, v32
	v_fma_f16 v10, v56, v32, -v33
	s_waitcnt vmcnt(34)
	v_lshrrev_b32_e32 v32, 16, v6
	v_pack_b32_f16 v11, v11, v31
	v_mul_f16_e32 v31, v53, v6
	v_fmac_f16_e32 v30, v56, v9
	s_waitcnt vmcnt(33)
	v_lshrrev_b32_e32 v33, 16, v48
	ds_store_b32 v154, v8 offset:4320
	ds_store_b32 v154, v11 offset:8640
	v_fma_f16 v9, v54, v32, -v31
	v_mul_f16_e32 v31, v53, v32
	s_waitcnt vmcnt(32)
	v_lshrrev_b32_e32 v8, 16, v12
	v_mul_f16_e32 v11, v33, v12
	v_pack_b32_f16 v10, v30, v10
	s_waitcnt vmcnt(30)
	v_lshrrev_b32_e32 v30, 16, v52
	v_fmac_f16_e32 v31, v54, v6
	v_mul_f16_e32 v6, v33, v8
	v_fma_f16 v8, v48, v8, -v11
	s_waitcnt vmcnt(28)
	v_lshrrev_b32_e32 v11, 16, v7
	ds_store_2addr_b32 v154, v18, v10 offset1:108
	v_pack_b32_f16 v9, v31, v9
	v_fmac_f16_e32 v6, v48, v12
	v_lshrrev_b32_e32 v12, 16, v49
	v_mul_f16_e32 v10, v30, v11
	scratch_store_b32 off, v49, off offset:164 ; 4-byte Folded Spill
	s_waitcnt vmcnt(25)
	scratch_store_b32 off, v51, off offset:168 ; 4-byte Folded Spill
	v_pack_b32_f16 v6, v6, v8
	v_mul_f16_e32 v8, v30, v7
	v_fmac_f16_e32 v10, v52, v7
	v_lshrrev_b32_e32 v32, 16, v50
	s_clause 0x1
	scratch_store_b32 off, v12, off offset:160
	scratch_store_b32 off, v53, off offset:204
	v_fma_f16 v8, v52, v11, -v8
	v_lshrrev_b32_e32 v11, 16, v4
	s_clause 0x2
	scratch_store_b32 off, v48, off offset:180
	scratch_store_b32 off, v32, off offset:184
	;; [unrolled: 1-line block ×3, first 2 shown]
	v_pack_b32_f16 v8, v10, v8
	v_lshrrev_b32_e32 v10, 16, v51
	scratch_store_b32 off, v33, off offset:176 ; 4-byte Folded Spill
	v_add_nc_u32_e32 v33, 0x1200, v154
	s_clause 0x4
	scratch_store_b32 off, v54, off offset:200
	scratch_store_b32 off, v58, off offset:208
	;; [unrolled: 1-line block ×5, first 2 shown]
	ds_store_2addr_b32 v33, v9, v6 offset0:36 offset1:144
	v_lshrrev_b32_e32 v6, 16, v5
	v_mul_f16_e32 v9, v12, v5
	s_waitcnt vmcnt(19)
	scratch_store_b32 off, v46, off offset:148 ; 4-byte Folded Spill
	v_mul_f16_e32 v7, v12, v6
	v_fma_f16 v6, v49, v6, -v9
	v_mul_f16_e32 v9, v32, v4
	v_add_nc_u32_e32 v12, 0x2200, v154
	s_delay_alu instid0(VALU_DEP_4) | instskip(NEXT) | instid1(VALU_DEP_3)
	v_fmac_f16_e32 v7, v49, v5
	v_fma_f16 v5, v50, v11, -v9
	v_mul_f16_e32 v9, v32, v11
	s_delay_alu instid0(VALU_DEP_3) | instskip(SKIP_1) | instid1(VALU_DEP_3)
	v_pack_b32_f16 v6, v7, v6
	v_lshrrev_b32_e32 v7, 16, v19
	v_fmac_f16_e32 v9, v50, v4
	v_mul_f16_e32 v4, v10, v19
	ds_store_2addr_b32 v12, v8, v6 offset0:92 offset1:200
	v_mul_f16_e32 v6, v10, v7
	v_lshrrev_b32_e32 v10, 16, v47
	v_pack_b32_f16 v5, v9, v5
	v_fma_f16 v4, v51, v7, -v4
	v_lshrrev_b32_e32 v7, 16, v20
	v_fmac_f16_e32 v6, v51, v19
	v_mul_f16_e32 v8, v10, v20
	s_clause 0x1
	scratch_store_b32 off, v47, off offset:152
	scratch_store_b32 off, v10, off offset:156
	v_mul_f16_e32 v9, v10, v7
	v_pack_b32_f16 v4, v6, v4
	v_fma_f16 v7, v47, v7, -v8
	v_lshrrev_b32_e32 v8, 16, v44
	v_lshrrev_b32_e32 v6, 16, v21
	v_fmac_f16_e32 v9, v47, v20
	ds_store_2addr_b32 v240, v5, v4 offset0:88 offset1:196
	v_mul_f16_e32 v4, v8, v21
	scratch_store_b32 off, v8, off offset:132 ; 4-byte Folded Spill
	v_pack_b32_f16 v5, v9, v7
	v_mul_f16_e32 v7, v8, v6
	v_lshrrev_b32_e32 v9, 16, v46
	v_fma_f16 v4, v44, v6, -v4
	s_waitcnt vmcnt(18)
	v_lshrrev_b32_e32 v6, 16, v22
	s_waitcnt vmcnt(2)
	v_lshrrev_b32_e32 v11, 16, v36
	v_fmac_f16_e32 v7, v44, v21
	v_mul_f16_e32 v8, v9, v22
	scratch_store_b32 off, v36, off offset:64 ; 4-byte Folded Spill
	v_lshrrev_b32_e32 v10, 16, v39
	scratch_store_b32 off, v11, off offset:68 ; 4-byte Folded Spill
	v_pack_b32_f16 v4, v7, v4
	v_lshrrev_b32_e32 v7, 16, v43
	v_fma_f16 v8, v46, v6, -v8
	v_mul_f16_e32 v6, v9, v6
	s_waitcnt vmcnt(1)
	v_lshrrev_b32_e32 v12, 16, v35
	ds_store_2addr_b32 v138, v5, v4 offset0:124 offset1:232
	v_lshrrev_b32_e32 v4, 16, v23
	v_mul_f16_e32 v5, v7, v23
	v_fmac_f16_e32 v6, v46, v22
	s_clause 0x2
	scratch_store_b32 off, v7, off offset:116
	scratch_store_b32 off, v39, off offset:88
	;; [unrolled: 1-line block ×3, first 2 shown]
	v_fma_f16 v5, v43, v4, -v5
	v_mul_f16_e32 v4, v7, v4
	v_pack_b32_f16 v6, v6, v8
	v_lshrrev_b32_e32 v7, 16, v45
	s_clause 0x1
	scratch_store_b32 off, v45, off offset:136
	scratch_store_b32 off, v9, off offset:144
	v_fmac_f16_e32 v4, v43, v23
	v_add_nc_u32_e32 v9, 0x2600, v154
	v_lshrrev_b32_e32 v8, 16, v42
	s_clause 0x1
	scratch_store_b32 off, v7, off offset:140
	scratch_store_b32 off, v42, off offset:120
	v_pack_b32_f16 v4, v4, v5
	v_lshrrev_b32_e32 v5, 16, v24
	s_clause 0x1
	scratch_store_b32 off, v8, off offset:124
	scratch_store_b32 off, v44, off offset:128
	ds_store_2addr_b32 v9, v6, v4 offset0:52 offset1:160
	v_mul_f16_e32 v4, v7, v24
	v_mul_f16_e32 v6, v7, v5
	;; [unrolled: 1-line block ×3, first 2 shown]
	v_lshrrev_b32_e32 v9, 16, v37
	scratch_store_b32 off, v37, off offset:72 ; 4-byte Folded Spill
	v_fma_f16 v4, v45, v5, -v4
	v_lshrrev_b32_e32 v5, 16, v25
	v_fmac_f16_e32 v6, v45, v24
	scratch_store_b32 off, v9, off offset:76 ; 4-byte Folded Spill
	v_fma_f16 v7, v42, v5, -v7
	v_mul_f16_e32 v5, v8, v5
	v_pack_b32_f16 v4, v6, v4
	v_lshrrev_b32_e32 v6, 16, v41
	v_lshrrev_b32_e32 v8, 16, v38
	scratch_store_b32 off, v43, off offset:112 ; 4-byte Folded Spill
	v_fmac_f16_e32 v5, v42, v25
	s_clause 0x2
	scratch_store_b32 off, v38, off offset:80
	scratch_store_b32 off, v6, off offset:108
	scratch_store_b32 off, v8, off offset:84
	v_pack_b32_f16 v5, v5, v7
	v_mul_f16_e32 v7, v8, v27
	ds_store_2addr_b32 v241, v4, v5 offset0:48 offset1:156
	v_lshrrev_b32_e32 v4, 16, v26
	v_mul_f16_e32 v5, v6, v26
	s_delay_alu instid0(VALU_DEP_1) | instskip(SKIP_2) | instid1(VALU_DEP_2)
	v_fma_f16 v5, v41, v4, -v5
	v_mul_f16_e32 v4, v6, v4
	v_lshrrev_b32_e32 v6, 16, v27
	v_fmac_f16_e32 v4, v41, v26
	s_delay_alu instid0(VALU_DEP_2) | instskip(SKIP_2) | instid1(VALU_DEP_4)
	v_fma_f16 v7, v38, v6, -v7
	v_mul_f16_e32 v6, v8, v6
	v_add_nc_u32_e32 v8, 0x1800, v154
	v_pack_b32_f16 v4, v4, v5
	s_delay_alu instid0(VALU_DEP_3) | instskip(NEXT) | instid1(VALU_DEP_1)
	v_fmac_f16_e32 v6, v38, v27
	v_pack_b32_f16 v5, v6, v7
	v_lshrrev_b32_e32 v7, 16, v40
	s_clause 0x1
	scratch_store_b32 off, v40, off offset:96
	scratch_store_b32 off, v41, off offset:104
	global_load_b32 v6, v[15:16], off
	ds_store_2addr_b32 v8, v4, v5 offset0:84 offset1:192
	scratch_store_b32 off, v7, off offset:100 ; 4-byte Folded Spill
	v_lshrrev_b32_e32 v4, 16, v29
	v_mul_f16_e32 v5, v7, v29
	v_mul_f16_e32 v8, v9, v17
	s_delay_alu instid0(VALU_DEP_2) | instskip(SKIP_2) | instid1(VALU_DEP_2)
	v_fma_f16 v5, v40, v4, -v5
	v_mul_f16_e32 v4, v7, v4
	v_lshrrev_b32_e32 v7, 16, v17
	v_fmac_f16_e32 v4, v40, v29
	s_delay_alu instid0(VALU_DEP_2) | instskip(SKIP_1) | instid1(VALU_DEP_3)
	v_fma_f16 v8, v37, v7, -v8
	v_mul_f16_e32 v7, v9, v7
	v_pack_b32_f16 v4, v4, v5
	s_delay_alu instid0(VALU_DEP_2) | instskip(NEXT) | instid1(VALU_DEP_1)
	v_fmac_f16_e32 v7, v37, v17
	v_pack_b32_f16 v5, v7, v8
	global_load_b32 v7, v[13:14], off
	ds_store_2addr_b32 v228, v4, v5 offset0:140 offset1:248
	v_add_co_u32 v4, vcc_lo, v13, s2
	v_add_co_ci_u32_e32 v5, vcc_lo, s3, v14, vcc_lo
	s_waitcnt vmcnt(1)
	v_lshrrev_b32_e32 v8, 16, v6
	v_mul_f16_e32 v9, v10, v6
	s_delay_alu instid0(VALU_DEP_1) | instskip(SKIP_1) | instid1(VALU_DEP_1)
	v_fma_f16 v9, v39, v8, -v9
	v_mul_f16_e32 v8, v10, v8
	v_fmac_f16_e32 v8, v39, v6
	s_waitcnt vmcnt(0)
	v_lshrrev_b32_e32 v6, 16, v7
	v_mul_f16_e32 v10, v11, v7
	s_delay_alu instid0(VALU_DEP_1) | instskip(SKIP_1) | instid1(VALU_DEP_1)
	v_fma_f16 v10, v36, v6, -v10
	v_mul_f16_e32 v6, v11, v6
	v_fmac_f16_e32 v6, v36, v7
	v_pack_b32_f16 v7, v8, v9
	s_delay_alu instid0(VALU_DEP_2)
	v_pack_b32_f16 v6, v6, v10
	ds_store_2addr_b32 v126, v7, v6 offset0:136 offset1:244
	v_add_co_u32 v6, vcc_lo, v4, s2
	v_add_co_ci_u32_e32 v7, vcc_lo, s3, v5, vcc_lo
	global_load_b32 v10, v[4:5], off
	global_load_b32 v13, v[0:1], off offset:3680
	v_add_co_u32 v0, vcc_lo, v6, s9
	v_add_co_ci_u32_e32 v1, vcc_lo, s8, v7, vcc_lo
	s_clause 0x1
	scratch_store_b32 off, v35, off offset:56
	scratch_store_b32 off, v12, off offset:60
	v_add_co_u32 v4, vcc_lo, v0, s2
	v_add_co_ci_u32_e32 v5, vcc_lo, s3, v1, vcc_lo
	s_delay_alu instid0(VALU_DEP_2)
	v_add_co_u32 v8, vcc_lo, v4, s2
	global_load_b32 v4, v[4:5], off
	v_add_co_ci_u32_e32 v9, vcc_lo, s3, v5, vcc_lo
	s_waitcnt vmcnt(2)
	v_lshrrev_b32_e32 v5, 16, v10
	v_mul_f16_e32 v11, v12, v10
	s_waitcnt vmcnt(1)
	v_lshrrev_b32_e32 v14, 16, v13
	scratch_store_b32 off, v13, off offset:32 ; 4-byte Folded Spill
	v_fma_f16 v11, v35, v5, -v11
	scratch_store_b32 off, v14, off offset:36 ; 4-byte Folded Spill
	v_mul_f16_e32 v5, v12, v5
	s_delay_alu instid0(VALU_DEP_1) | instskip(SKIP_3) | instid1(VALU_DEP_1)
	v_fmac_f16_e32 v5, v35, v10
	s_waitcnt vmcnt(0)
	v_lshrrev_b32_e32 v10, 16, v4
	v_mul_f16_e32 v12, v14, v4
	v_fma_f16 v12, v13, v10, -v12
	v_mul_f16_e32 v10, v14, v10
	s_delay_alu instid0(VALU_DEP_1) | instskip(SKIP_1) | instid1(VALU_DEP_2)
	v_fmac_f16_e32 v10, v13, v4
	v_pack_b32_f16 v4, v5, v11
	v_pack_b32_f16 v5, v10, v12
	v_add_nc_u32_e32 v10, 0x1c00, v154
	ds_store_2addr_b32 v10, v4, v5 offset0:44 offset1:152
	global_load_b32 v4, v[6:7], off
	s_clause 0x1
	global_load_b32 v6, v[2:3], off offset:3472
	global_load_b32 v10, v[2:3], off offset:3904
	global_load_b32 v5, v[8:9], off
	v_add_co_u32 v2, vcc_lo, v8, s9
	v_add_co_ci_u32_e32 v3, vcc_lo, s8, v9, vcc_lo
	s_waitcnt vmcnt(2)
	v_mov_b32_e32 v8, v6
	v_lshrrev_b32_e32 v6, 16, v4
	s_delay_alu instid0(VALU_DEP_2) | instskip(SKIP_4) | instid1(VALU_DEP_1)
	v_lshrrev_b32_e32 v9, 16, v8
	s_clause 0x1
	scratch_store_b32 off, v8, off offset:48
	scratch_store_b32 off, v9, off offset:52
	v_mul_f16_e32 v7, v9, v4
	v_fma_f16 v7, v8, v6, -v7
	v_mul_f16_e32 v6, v9, v6
	s_waitcnt vmcnt(1)
	v_lshrrev_b32_e32 v9, 16, v10
	scratch_store_b32 off, v10, off offset:24 ; 4-byte Folded Spill
	v_fmac_f16_e32 v6, v8, v4
	scratch_store_b32 off, v9, off offset:28 ; 4-byte Folded Spill
	s_waitcnt vmcnt(0)
	v_lshrrev_b32_e32 v4, 16, v5
	v_mul_f16_e32 v8, v9, v5
	s_delay_alu instid0(VALU_DEP_1) | instskip(SKIP_1) | instid1(VALU_DEP_1)
	v_fma_f16 v8, v10, v4, -v8
	v_mul_f16_e32 v4, v9, v4
	v_fmac_f16_e32 v4, v10, v5
	v_pack_b32_f16 v5, v6, v7
	v_add_nc_u32_e32 v6, 0x2c00, v154
	s_delay_alu instid0(VALU_DEP_3)
	v_pack_b32_f16 v4, v4, v8
	ds_store_2addr_b32 v6, v5, v4 offset0:100 offset1:208
	global_load_b32 v4, v[0:1], off
	v_add_co_u32 v0, vcc_lo, v2, s2
	global_load_b32 v2, v[2:3], off
	s_clause 0x1
	global_load_b32 v6, v154, s[4:5] offset:3456
	global_load_b32 v7, v154, s[4:5] offset:3888
	v_add_co_ci_u32_e32 v1, vcc_lo, s3, v3, vcc_lo
	s_waitcnt vmcnt(3)
	v_lshrrev_b32_e32 v3, 16, v4
	s_waitcnt vmcnt(1)
	v_lshrrev_b32_e32 v8, 16, v6
	s_clause 0x1
	scratch_store_b32 off, v6, off offset:40
	scratch_store_b32 off, v8, off offset:44
	v_mul_f16_e32 v5, v8, v4
	s_delay_alu instid0(VALU_DEP_1) | instskip(SKIP_3) | instid1(VALU_DEP_2)
	v_fma_f16 v5, v6, v3, -v5
	v_mul_f16_e32 v3, v8, v3
	s_waitcnt vmcnt(0)
	v_lshrrev_b32_e32 v8, 16, v7
	v_fmac_f16_e32 v3, v6, v4
	v_lshrrev_b32_e32 v4, 16, v2
	s_delay_alu instid0(VALU_DEP_3) | instskip(SKIP_3) | instid1(VALU_DEP_1)
	v_mul_f16_e32 v6, v8, v2
	scratch_store_b32 off, v8, off offset:20 ; 4-byte Folded Spill
	v_fma_f16 v6, v7, v4, -v6
	v_mul_f16_e32 v4, v8, v4
	v_fmac_f16_e32 v4, v7, v2
	v_pack_b32_f16 v2, v3, v5
	s_delay_alu instid0(VALU_DEP_2)
	v_pack_b32_f16 v3, v4, v6
	v_lshrrev_b32_e32 v4, 16, v34
	scratch_store_b32 off, v7, off offset:16 ; 4-byte Folded Spill
	ds_store_2addr_b32 v82, v2, v3 offset0:96 offset1:204
	v_add_co_u32 v2, vcc_lo, v0, s2
	v_add_co_ci_u32_e32 v3, vcc_lo, s3, v1, vcc_lo
	v_add_co_u32 v237, vcc_lo, 0x3000, v163
	v_add_co_ci_u32_e32 v238, vcc_lo, 0, v164, vcc_lo
	global_load_b32 v0, v[0:1], off
	global_load_b32 v1, v[2:3], off
	v_cmp_gt_u16_e32 vcc_lo, 0x5a, v28
	scratch_store_b32 off, v4, off offset:12 ; 4-byte Folded Spill
	global_load_b32 v5, v[237:238], off offset:240
	s_waitcnt vmcnt(2)
	v_lshrrev_b32_e32 v2, 16, v0
	v_mul_f16_e32 v3, v4, v0
	s_waitcnt vmcnt(0)
	v_lshrrev_b32_e32 v6, 16, v5
	scratch_store_b32 off, v5, off          ; 4-byte Folded Spill
	v_fma_f16 v3, v34, v2, -v3
	v_mul_f16_e32 v2, v4, v2
	scratch_store_b32 off, v34, off offset:8 ; 4-byte Folded Spill
	v_mul_f16_e32 v4, v6, v1
	scratch_store_b32 off, v6, off offset:4 ; 4-byte Folded Spill
	v_fmac_f16_e32 v2, v34, v0
	v_lshrrev_b32_e32 v0, 16, v1
	s_delay_alu instid0(VALU_DEP_1) | instskip(SKIP_1) | instid1(VALU_DEP_1)
	v_fma_f16 v4, v5, v0, -v4
	v_mul_f16_e32 v0, v6, v0
	v_fmac_f16_e32 v0, v5, v1
	v_pack_b32_f16 v1, v2, v3
	s_delay_alu instid0(VALU_DEP_2)
	v_pack_b32_f16 v0, v0, v4
	ds_store_b32 v154, v1 offset:8208
	ds_store_b32 v154, v0 offset:12528
	s_load_b128 s[8:11], s[10:11], 0x0
	s_waitcnt lgkmcnt(0)
	s_waitcnt_vscnt null, 0x0
	s_barrier
	buffer_gl0_inv
	ds_load_2addr_b32 v[0:1], v162 offset0:56 offset1:164
	ds_load_2addr_b32 v[2:3], v161 offset0:112 offset1:220
	ds_load_2addr_b32 v[4:5], v154 offset1:108
	s_mul_i32 s12, s8, 0x10e0
	s_waitcnt lgkmcnt(2)
	v_lshrrev_b32_e32 v8, 16, v1
	s_waitcnt lgkmcnt(1)
	v_add_f16_e32 v6, v1, v3
	v_lshrrev_b32_e32 v16, 16, v3
	s_waitcnt lgkmcnt(0)
	v_add_f16_e32 v7, v5, v1
	v_lshrrev_b32_e32 v12, 16, v5
	v_sub_f16_e32 v1, v1, v3
	v_fmac_f16_e32 v5, -0.5, v6
	v_add_f16_e32 v6, v8, v16
	v_add_f16_e32 v10, v4, v0
	v_add_f16_e32 v19, v12, v8
	v_add_f16_e32 v9, v0, v2
	v_lshrrev_b32_e32 v11, 16, v0
	v_fmac_f16_e32 v12, -0.5, v6
	v_sub_f16_e32 v6, v8, v16
	v_sub_f16_e32 v0, v0, v2
	v_add_f16_e32 v29, v7, v3
	v_fma_f16 v3, -0.5, v9, v4
	v_fmamk_f16 v27, v1, 0xbaee, v12
	v_fmamk_f16 v20, v6, 0x3aee, v5
	v_fmac_f16_e32 v5, 0xbaee, v6
	v_fmac_f16_e32 v12, 0x3aee, v1
	v_add_f16_e32 v1, v10, v2
	v_lshrrev_b32_e32 v2, 16, v2
	v_lshrrev_b32_e32 v4, 16, v4
	v_add_f16_e32 v16, v19, v16
	v_pack_b32_f16 v30, v5, v12
	v_pack_b32_f16 v19, v20, v27
	v_add_f16_e32 v5, v11, v2
	v_add_f16_e32 v6, v4, v11
	v_add_co_u32 v20, null, 0x6c, v153
	v_pack_b32_f16 v16, v29, v16
	s_delay_alu instid0(VALU_DEP_4) | instskip(SKIP_3) | instid1(VALU_DEP_3)
	v_fmac_f16_e32 v4, -0.5, v5
	v_sub_f16_e32 v5, v11, v2
	v_add_f16_e32 v2, v6, v2
	v_mul_u32_u24_e32 v27, 3, v20
	v_fmamk_f16 v6, v5, 0x3aee, v3
	v_fmac_f16_e32 v3, 0xbaee, v5
	v_fmamk_f16 v5, v0, 0xbaee, v4
	v_fmac_f16_e32 v4, 0x3aee, v0
	v_mul_lo_u16 v0, v28, 3
	v_lshlrev_b32_e32 v27, 2, v27
	v_pack_b32_f16 v31, v1, v2
	v_pack_b32_f16 v32, v6, v5
	;; [unrolled: 1-line block ×3, first 2 shown]
	v_and_b32_e32 v0, 0xffff, v0
	s_delay_alu instid0(VALU_DEP_1)
	v_dual_mov_b32 v36, v27 :: v_dual_lshlrev_b32 v35, 2, v0
	scratch_store_b32 off, v35, off offset:248 ; 4-byte Folded Spill
	ds_load_2addr_b32 v[0:1], v138 offset0:16 offset1:124
	ds_load_2addr_b32 v[2:3], v150 offset0:72 offset1:180
	;; [unrolled: 1-line block ×12, first 2 shown]
	s_waitcnt lgkmcnt(0)
	s_waitcnt_vscnt null, 0x0
	s_barrier
	buffer_gl0_inv
	ds_store_2addr_b32 v35, v31, v32 offset1:1
	ds_store_b32 v35, v33 offset:8
	ds_store_2addr_b32 v27, v16, v19 offset1:1
	ds_store_b32 v36, v30 offset:8
	v_add_co_u32 v30, null, 0x144, v153
	v_add_f16_e32 v16, v1, v3
	v_add_f16_e32 v19, v5, v1
	v_lshrrev_b32_e32 v27, 16, v1
	v_lshrrev_b32_e32 v33, 16, v5
	v_sub_f16_e32 v1, v1, v3
	v_fmac_f16_e32 v5, -0.5, v16
	v_lshrrev_b32_e32 v16, 16, v3
	v_add_f16_e32 v31, v4, v0
	v_add_f16_e32 v35, v33, v27
	v_add_f16_e32 v29, v0, v2
	v_lshrrev_b32_e32 v32, 16, v0
	v_add_f16_e32 v34, v27, v16
	v_sub_f16_e32 v27, v27, v16
	v_sub_f16_e32 v0, v0, v2
	v_add_f16_e32 v3, v19, v3
	v_fma_f16 v19, -0.5, v29, v4
	v_fmac_f16_e32 v33, -0.5, v34
	v_fmamk_f16 v34, v27, 0x3aee, v5
	v_fmac_f16_e32 v5, 0xbaee, v27
	v_lshrrev_b32_e32 v4, 16, v4
	s_delay_alu instid0(VALU_DEP_4) | instskip(SKIP_4) | instid1(VALU_DEP_4)
	v_fmamk_f16 v27, v1, 0xbaee, v33
	v_fmac_f16_e32 v33, 0x3aee, v1
	v_add_f16_e32 v1, v31, v2
	v_lshrrev_b32_e32 v2, 16, v2
	v_add_f16_e32 v31, v4, v32
	v_pack_b32_f16 v5, v5, v33
	s_delay_alu instid0(VALU_DEP_3) | instskip(NEXT) | instid1(VALU_DEP_1)
	v_add_f16_e32 v29, v32, v2
	v_fmac_f16_e32 v4, -0.5, v29
	v_sub_f16_e32 v29, v32, v2
	v_add_f16_e32 v2, v31, v2
	s_delay_alu instid0(VALU_DEP_2) | instskip(SKIP_4) | instid1(VALU_DEP_3)
	v_fmamk_f16 v31, v29, 0x3aee, v19
	v_fmac_f16_e32 v19, 0xbaee, v29
	v_fmamk_f16 v29, v0, 0xbaee, v4
	v_fmac_f16_e32 v4, 0x3aee, v0
	v_pack_b32_f16 v0, v1, v2
	v_pack_b32_f16 v1, v31, v29
	v_add_co_u32 v29, null, 0xd8, v153
	s_delay_alu instid0(VALU_DEP_4) | instskip(SKIP_1) | instid1(VALU_DEP_3)
	v_pack_b32_f16 v2, v19, v4
	v_lshrrev_b32_e32 v19, 16, v15
	v_mul_u32_u24_e32 v4, 3, v29
	s_delay_alu instid0(VALU_DEP_1)
	v_lshlrev_b32_e32 v4, 2, v4
	scratch_store_b32 off, v36, off offset:252 ; 4-byte Folded Spill
	ds_store_2addr_b32 v4, v0, v1 offset1:1
	ds_store_b32 v4, v2 offset:8
	v_mul_u32_u24_e32 v2, 3, v30
	v_add_f16_e32 v0, v35, v16
	v_pack_b32_f16 v1, v34, v27
	v_lshrrev_b32_e32 v16, 16, v7
	s_delay_alu instid0(VALU_DEP_4) | instskip(NEXT) | instid1(VALU_DEP_4)
	v_lshlrev_b32_e32 v2, 2, v2
	v_pack_b32_f16 v0, v3, v0
	v_add_f16_e32 v3, v14, v6
	s_delay_alu instid0(VALU_DEP_4) | instskip(NEXT) | instid1(VALU_DEP_4)
	v_add_f16_e32 v31, v19, v16
	v_mov_b32_e32 v33, v2
	scratch_store_b32 off, v4, off offset:256 ; 4-byte Folded Spill
	v_add_f16_e32 v4, v7, v9
	ds_store_2addr_b32 v2, v0, v1 offset1:1
	v_lshrrev_b32_e32 v0, 16, v6
	ds_store_b32 v33, v5 offset:8
	v_add_f16_e32 v1, v6, v8
	v_sub_f16_e32 v2, v6, v8
	v_add_f16_e32 v6, v15, v7
	v_fmac_f16_e32 v15, -0.5, v4
	v_lshrrev_b32_e32 v4, 16, v9
	v_sub_f16_e32 v7, v7, v9
	v_add_f16_e32 v3, v3, v8
	v_add_f16_e32 v6, v6, v9
	v_lshrrev_b32_e32 v9, 16, v14
	v_add_f16_e32 v27, v16, v4
	v_sub_f16_e32 v16, v16, v4
	v_fma_f16 v1, -0.5, v1, v14
	v_add_f16_e32 v5, v11, v13
	s_delay_alu instid0(VALU_DEP_4) | instskip(NEXT) | instid1(VALU_DEP_4)
	v_fmac_f16_e32 v19, -0.5, v27
	v_fmamk_f16 v27, v16, 0x3aee, v15
	v_fmac_f16_e32 v15, 0xbaee, v16
	v_add_co_u32 v16, null, 0x1b0, v153
	s_delay_alu instid0(VALU_DEP_4) | instskip(SKIP_2) | instid1(VALU_DEP_2)
	v_fmamk_f16 v32, v7, 0xbaee, v19
	v_fmac_f16_e32 v19, 0x3aee, v7
	v_lshrrev_b32_e32 v7, 16, v8
	v_pack_b32_f16 v8, v15, v19
	s_delay_alu instid0(VALU_DEP_2) | instskip(SKIP_2) | instid1(VALU_DEP_3)
	v_add_f16_e32 v14, v0, v7
	v_add_f16_e32 v15, v9, v0
	v_sub_f16_e32 v0, v0, v7
	v_fmac_f16_e32 v9, -0.5, v14
	s_delay_alu instid0(VALU_DEP_3) | instskip(NEXT) | instid1(VALU_DEP_3)
	v_add_f16_e32 v7, v15, v7
	v_fmamk_f16 v14, v0, 0x3aee, v1
	v_fmac_f16_e32 v1, 0xbaee, v0
	s_delay_alu instid0(VALU_DEP_4)
	v_fmamk_f16 v0, v2, 0xbaee, v9
	v_fmac_f16_e32 v9, 0x3aee, v2
	v_pack_b32_f16 v2, v3, v7
	v_mul_u32_u24_e32 v3, 3, v16
	v_lshrrev_b32_e32 v7, 16, v11
	v_pack_b32_f16 v0, v14, v0
	v_pack_b32_f16 v1, v1, v9
	v_sub_f16_e32 v9, v11, v13
	v_lshlrev_b32_e32 v3, 2, v3
	s_clause 0x1
	scratch_store_b32 off, v33, off offset:260
	scratch_store_b32 off, v3, off offset:264
	ds_store_2addr_b32 v3, v2, v0 offset1:1
	ds_store_b32 v3, v1 offset:8
	v_add_co_u32 v2, null, 0x21c, v153
	v_add_f16_e32 v0, v31, v4
	v_pack_b32_f16 v1, v27, v32
	v_add_f16_e32 v4, v17, v10
	s_delay_alu instid0(VALU_DEP_4)
	v_mul_u32_u24_e32 v3, 3, v2
	v_and_b32_e32 v32, 0xffff, v29
	v_pack_b32_f16 v0, v6, v0
	v_add_f16_e32 v6, v18, v11
	v_add_f16_e32 v4, v4, v12
	v_lshlrev_b32_e32 v3, 2, v3
	v_and_b32_e32 v31, 0xffff, v30
	s_delay_alu instid0(VALU_DEP_4)
	v_add_f16_e32 v6, v6, v13
	ds_store_2addr_b32 v3, v0, v1 offset1:1
	v_mov_b32_e32 v19, v3
	v_lshrrev_b32_e32 v0, 16, v10
	v_add_f16_e32 v1, v10, v12
	v_sub_f16_e32 v3, v10, v12
	v_lshrrev_b32_e32 v10, 16, v18
	v_fmac_f16_e32 v18, -0.5, v5
	v_lshrrev_b32_e32 v5, 16, v13
	v_fma_f16 v1, -0.5, v1, v17
	ds_store_b32 v19, v8 offset:8
	v_add_f16_e32 v14, v10, v7
	v_add_co_u32 v8, null, 0x288, v153
	v_add_f16_e32 v11, v7, v5
	v_sub_f16_e32 v7, v7, v5
	scratch_store_b32 off, v19, off offset:272 ; 4-byte Folded Spill
	v_fmac_f16_e32 v10, -0.5, v11
	v_fmamk_f16 v11, v7, 0x3aee, v18
	v_fmac_f16_e32 v18, 0xbaee, v7
	s_delay_alu instid0(VALU_DEP_3) | instskip(SKIP_3) | instid1(VALU_DEP_3)
	v_fmamk_f16 v7, v9, 0xbaee, v10
	v_fmac_f16_e32 v10, 0x3aee, v9
	v_lshrrev_b32_e32 v9, 16, v12
	v_lshrrev_b32_e32 v12, 16, v17
	v_pack_b32_f16 v10, v18, v10
	s_delay_alu instid0(VALU_DEP_3) | instskip(NEXT) | instid1(VALU_DEP_3)
	v_add_f16_e32 v13, v0, v9
	v_add_f16_e32 v15, v12, v0
	v_sub_f16_e32 v0, v0, v9
	s_delay_alu instid0(VALU_DEP_3) | instskip(NEXT) | instid1(VALU_DEP_3)
	v_fmac_f16_e32 v12, -0.5, v13
	v_add_f16_e32 v9, v15, v9
	s_delay_alu instid0(VALU_DEP_3)
	v_fmamk_f16 v13, v0, 0x3aee, v1
	v_fmac_f16_e32 v1, 0xbaee, v0
	v_lshrrev_b32_e32 v15, 16, v21
	v_fmamk_f16 v0, v3, 0xbaee, v12
	v_fmac_f16_e32 v12, 0x3aee, v3
	v_pack_b32_f16 v3, v4, v9
	v_mul_u32_u24_e32 v4, 3, v8
	v_add_co_u32 v9, null, 0x2f4, v153
	v_pack_b32_f16 v0, v13, v0
	v_pack_b32_f16 v1, v1, v12
	s_delay_alu instid0(VALU_DEP_4)
	v_lshlrev_b32_e32 v4, 2, v4
	v_lshrrev_b32_e32 v12, 16, v22
	ds_store_2addr_b32 v4, v3, v0 offset1:1
	ds_store_b32 v4, v1 offset:8
	v_add_f16_e32 v0, v14, v5
	v_mul_u32_u24_e32 v3, 3, v9
	v_pack_b32_f16 v1, v11, v7
	v_add_f16_e32 v5, v24, v26
	v_sub_f16_e32 v11, v24, v26
	v_pack_b32_f16 v0, v6, v0
	v_lshlrev_b32_e32 v3, 2, v3
	v_add_f16_e32 v6, v22, v24
	v_fmac_f16_e32 v22, -0.5, v5
	v_lshrrev_b32_e32 v5, 16, v26
	scratch_store_b32 off, v4, off offset:268 ; 4-byte Folded Spill
	v_mov_b32_e32 v19, v3
	ds_store_2addr_b32 v3, v0, v1 offset1:1
	v_lshrrev_b32_e32 v1, 16, v24
	v_lshrrev_b32_e32 v0, 16, v23
	v_add_f16_e32 v4, v23, v25
	ds_store_b32 v19, v10 offset:8
	v_sub_f16_e32 v7, v23, v25
	v_add_f16_e32 v13, v1, v5
	v_add_f16_e32 v14, v12, v1
	v_sub_f16_e32 v1, v1, v5
	v_fma_f16 v4, -0.5, v4, v21
	v_add_f16_e32 v18, v15, v0
	v_fmac_f16_e32 v12, -0.5, v13
	v_add_f16_e32 v3, v21, v23
	v_fmamk_f16 v13, v1, 0x3aee, v22
	v_fmac_f16_e32 v22, 0xbaee, v1
	v_add_f16_e32 v6, v6, v26
	v_fmamk_f16 v1, v11, 0xbaee, v12
	v_fmac_f16_e32 v12, 0x3aee, v11
	v_lshrrev_b32_e32 v11, 16, v25
	v_add_f16_e32 v3, v3, v25
	v_and_b32_e32 v21, 0xff, v20
	v_pack_b32_f16 v1, v13, v1
	v_pack_b32_f16 v12, v22, v12
	v_add_f16_e32 v17, v0, v11
	v_sub_f16_e32 v0, v0, v11
	v_add_f16_e32 v11, v18, v11
	v_and_b32_e32 v18, 0xff, v28
	s_delay_alu instid0(VALU_DEP_4) | instskip(NEXT) | instid1(VALU_DEP_4)
	v_fmac_f16_e32 v15, -0.5, v17
	v_fmamk_f16 v17, v0, 0x3aee, v4
	v_fmac_f16_e32 v4, 0xbaee, v0
	v_pack_b32_f16 v3, v3, v11
	s_delay_alu instid0(VALU_DEP_4) | instskip(SKIP_2) | instid1(VALU_DEP_3)
	v_fmamk_f16 v0, v7, 0xbaee, v15
	v_fmac_f16_e32 v15, 0x3aee, v7
	v_add_co_u32 v7, null, 0x360, v153
	v_pack_b32_f16 v0, v17, v0
	s_delay_alu instid0(VALU_DEP_3) | instskip(NEXT) | instid1(VALU_DEP_3)
	v_pack_b32_f16 v4, v4, v15
	v_mul_u32_u24_e32 v10, 3, v7
	s_delay_alu instid0(VALU_DEP_1)
	v_lshlrev_b32_e32 v10, 2, v10
	ds_store_2addr_b32 v10, v3, v0 offset1:1
	ds_store_b32 v10, v4 offset:8
	v_add_f16_e32 v0, v14, v5
	scratch_store_b32 off, v10, off offset:284 ; 4-byte Folded Spill
	v_pack_b32_f16 v0, v6, v0
	v_add_co_u32 v6, null, 0x3cc, v153
	s_delay_alu instid0(VALU_DEP_1) | instskip(NEXT) | instid1(VALU_DEP_1)
	v_mul_u32_u24_e32 v3, 3, v6
	v_lshlrev_b32_e32 v3, 2, v3
	s_clause 0x1
	scratch_store_b32 off, v19, off offset:280
	scratch_store_b32 off, v3, off offset:276
	ds_store_2addr_b32 v3, v0, v1 offset1:1
	ds_store_b32 v3, v12 offset:8
	v_and_b32_e32 v0, 0xffff, v2
	s_waitcnt lgkmcnt(0)
	s_waitcnt_vscnt null, 0x0
	s_barrier
	buffer_gl0_inv
	v_mul_u32_u24_e32 v0, 0xaaab, v0
	s_delay_alu instid0(VALU_DEP_1) | instskip(NEXT) | instid1(VALU_DEP_1)
	v_lshrrev_b32_e32 v4, 17, v0
	v_mul_lo_u16 v0, v4, 3
	s_delay_alu instid0(VALU_DEP_1) | instskip(SKIP_1) | instid1(VALU_DEP_2)
	v_sub_nc_u16 v5, v2, v0
	v_and_b32_e32 v0, 0xffff, v8
	v_mad_u16 v4, v4, 9, v5
	s_delay_alu instid0(VALU_DEP_2) | instskip(NEXT) | instid1(VALU_DEP_2)
	v_mul_u32_u24_e32 v0, 0xaaab, v0
	v_and_b32_e32 v4, 0xffff, v4
	s_delay_alu instid0(VALU_DEP_2) | instskip(NEXT) | instid1(VALU_DEP_2)
	v_lshrrev_b32_e32 v2, 17, v0
	v_lshlrev_b32_e32 v4, 2, v4
	s_delay_alu instid0(VALU_DEP_2) | instskip(NEXT) | instid1(VALU_DEP_1)
	v_mul_lo_u16 v0, v2, 3
	v_sub_nc_u16 v3, v8, v0
	v_mul_lo_u16 v8, 0xab, v18
	v_and_b32_e32 v0, 0xffff, v9
	s_delay_alu instid0(VALU_DEP_3) | instskip(NEXT) | instid1(VALU_DEP_3)
	v_mad_u16 v2, v2, 9, v3
	v_lshrrev_b16 v10, 9, v8
	v_mul_lo_u16 v8, 0xab, v21
	s_delay_alu instid0(VALU_DEP_4) | instskip(NEXT) | instid1(VALU_DEP_4)
	v_mul_u32_u24_e32 v0, 0xaaab, v0
	v_and_b32_e32 v2, 0xffff, v2
	s_delay_alu instid0(VALU_DEP_3) | instskip(SKIP_1) | instid1(VALU_DEP_4)
	v_lshrrev_b16 v19, 9, v8
	v_mul_lo_u16 v8, v10, 3
	v_lshrrev_b32_e32 v0, 17, v0
	s_delay_alu instid0(VALU_DEP_4) | instskip(NEXT) | instid1(VALU_DEP_3)
	v_lshlrev_b32_e32 v2, 2, v2
	v_sub_nc_u16 v8, v28, v8
	s_delay_alu instid0(VALU_DEP_3) | instskip(NEXT) | instid1(VALU_DEP_2)
	v_mul_lo_u16 v1, v0, 3
	v_and_b32_e32 v11, 0xff, v8
	v_mul_u32_u24_e32 v8, 0xaaab, v32
	s_delay_alu instid0(VALU_DEP_3)
	v_sub_nc_u16 v1, v9, v1
	v_mul_lo_u16 v9, v19, 3
	v_and_b32_e32 v19, 0xffff, v19
	v_lshlrev_b32_e32 v12, 3, v11
	v_lshrrev_b32_e32 v42, 17, v8
	v_mul_u32_u24_e32 v8, 0xaaab, v31
	v_sub_nc_u16 v9, v20, v9
	v_mul_u32_u24_e32 v19, 9, v19
	global_load_b64 v[211:212], v12, s[6:7]
	v_mad_u16 v0, v0, 9, v1
	v_lshrrev_b32_e32 v43, 17, v8
	v_mul_lo_u16 v8, v42, 3
	v_and_b32_e32 v41, 0xff, v9
	s_delay_alu instid0(VALU_DEP_4) | instskip(NEXT) | instid1(VALU_DEP_3)
	v_and_b32_e32 v0, 0xffff, v0
	v_sub_nc_u16 v44, v29, v8
	v_mul_lo_u16 v8, v43, 3
	s_delay_alu instid0(VALU_DEP_4) | instskip(NEXT) | instid1(VALU_DEP_4)
	v_lshlrev_b32_e32 v12, 3, v41
	v_lshlrev_b32_e32 v0, 2, v0
	s_delay_alu instid0(VALU_DEP_3) | instskip(SKIP_1) | instid1(VALU_DEP_2)
	v_sub_nc_u16 v45, v30, v8
	v_lshlrev_b16 v8, 1, v44
	v_lshlrev_b16 v9, 1, v45
	s_delay_alu instid0(VALU_DEP_2) | instskip(NEXT) | instid1(VALU_DEP_2)
	v_and_b32_e32 v8, 0xffff, v8
	v_and_b32_e32 v9, 0xffff, v9
	s_delay_alu instid0(VALU_DEP_2) | instskip(NEXT) | instid1(VALU_DEP_2)
	v_lshlrev_b32_e32 v8, 2, v8
	v_lshlrev_b32_e32 v9, 2, v9
	s_clause 0x2
	global_load_b64 v[75:76], v12, s[6:7]
	global_load_b64 v[71:72], v8, s[6:7]
	;; [unrolled: 1-line block ×3, first 2 shown]
	ds_load_2addr_b32 v[8:9], v162 offset0:56 offset1:164
	s_waitcnt lgkmcnt(0)
	v_lshrrev_b32_e32 v12, 16, v8
	v_lshrrev_b32_e32 v14, 16, v9
	s_waitcnt vmcnt(3)
	v_lshrrev_b32_e32 v17, 16, v211
	v_lshrrev_b32_e32 v33, 16, v212
	s_delay_alu instid0(VALU_DEP_2) | instskip(SKIP_1) | instid1(VALU_DEP_2)
	v_mul_f16_e32 v13, v12, v17
	v_mul_f16_e32 v17, v8, v17
	v_fma_f16 v13, v8, v211, -v13
	s_delay_alu instid0(VALU_DEP_2) | instskip(SKIP_3) | instid1(VALU_DEP_2)
	v_fmac_f16_e64 v17, v12, v211
	s_waitcnt vmcnt(2)
	v_lshrrev_b32_e32 v22, 16, v75
	v_lshrrev_b32_e32 v27, 16, v76
	v_mul_f16_e32 v15, v14, v22
	v_mul_f16_e32 v22, v9, v22
	s_delay_alu instid0(VALU_DEP_2)
	v_fma_f16 v15, v9, v75, -v15
	ds_load_2addr_b32 v[8:9], v161 offset0:112 offset1:220
	v_fmac_f16_e32 v22, v14, v75
	s_waitcnt lgkmcnt(0)
	v_lshrrev_b32_e32 v23, 16, v8
	v_lshrrev_b32_e32 v25, 16, v9
	v_mul_f16_e32 v47, v9, v27
	s_delay_alu instid0(VALU_DEP_3) | instskip(NEXT) | instid1(VALU_DEP_3)
	v_mul_f16_e32 v24, v23, v33
	v_mul_f16_e32 v26, v25, v27
	s_delay_alu instid0(VALU_DEP_3) | instskip(NEXT) | instid1(VALU_DEP_3)
	v_fmac_f16_e32 v47, v25, v76
	v_fma_f16 v24, v8, v212, -v24
	s_delay_alu instid0(VALU_DEP_3) | instskip(SKIP_2) | instid1(VALU_DEP_4)
	v_fma_f16 v46, v9, v76, -v26
	v_mul_f16_e32 v26, v8, v33
	v_and_b32_e32 v8, 0xffff, v7
	v_sub_f16_e32 v59, v13, v24
	s_delay_alu instid0(VALU_DEP_4) | instskip(NEXT) | instid1(VALU_DEP_4)
	v_add_f16_e32 v9, v15, v46
	v_fmac_f16_e64 v26, v23, v212
	s_delay_alu instid0(VALU_DEP_4) | instskip(NEXT) | instid1(VALU_DEP_2)
	v_mul_u32_u24_e32 v8, 0xaaab, v8
	v_sub_f16_e32 v60, v17, v26
	s_delay_alu instid0(VALU_DEP_2) | instskip(NEXT) | instid1(VALU_DEP_1)
	v_lshrrev_b32_e32 v48, 17, v8
	v_mul_lo_u16 v8, v48, 3
	s_delay_alu instid0(VALU_DEP_1)
	v_sub_nc_u16 v49, v7, v8
	ds_load_2addr_b32 v[7:8], v154 offset1:108
	s_waitcnt lgkmcnt(0)
	v_lshrrev_b32_e32 v12, 16, v8
	v_add_f16_e32 v50, v8, v15
	v_fmac_f16_e32 v8, -0.5, v9
	v_add_f16_e32 v9, v22, v47
	v_lshrrev_b32_e32 v56, 16, v7
	v_add_f16_e32 v51, v12, v22
	s_delay_alu instid0(VALU_DEP_3) | instskip(SKIP_1) | instid1(VALU_DEP_3)
	v_fmac_f16_e32 v12, -0.5, v9
	v_sub_f16_e32 v9, v22, v47
	v_add_f16_e32 v47, v51, v47
	s_delay_alu instid0(VALU_DEP_2) | instskip(SKIP_4) | instid1(VALU_DEP_3)
	v_fmamk_f16 v52, v9, 0x3aee, v8
	v_fmac_f16_e32 v8, 0xbaee, v9
	v_sub_f16_e32 v9, v15, v46
	v_add_f16_e32 v46, v50, v46
	v_add_lshl_u32 v50, v19, v41, 2
	v_fmamk_f16 v53, v9, 0xbaee, v12
	v_fmac_f16_e32 v12, 0x3aee, v9
	v_add_f16_e32 v9, v13, v24
	v_pack_b32_f16 v19, v46, v47
	s_delay_alu instid0(VALU_DEP_4) | instskip(NEXT) | instid1(VALU_DEP_4)
	v_pack_b32_f16 v46, v52, v53
	v_pack_b32_f16 v55, v8, v12
	v_and_b32_e32 v8, 0xffff, v6
	v_fma_f16 v54, -0.5, v9, v7
	v_add_f16_e32 v7, v7, v13
	v_lshlrev_b16 v9, 1, v1
	v_mov_b32_e32 v52, v50
	v_mul_u32_u24_e32 v8, 0xaaab, v8
	s_waitcnt vmcnt(1)
	v_lshrrev_b32_e32 v53, 16, v72
	v_and_b32_e32 v9, 0xffff, v9
	s_delay_alu instid0(VALU_DEP_3) | instskip(NEXT) | instid1(VALU_DEP_2)
	v_lshrrev_b32_e32 v57, 17, v8
	v_lshlrev_b32_e32 v9, 2, v9
	s_delay_alu instid0(VALU_DEP_2) | instskip(NEXT) | instid1(VALU_DEP_1)
	v_mul_lo_u16 v8, v57, 3
	v_sub_nc_u16 v58, v6, v8
	v_add_f16_e32 v6, v7, v24
	v_add_f16_e32 v7, v56, v17
	v_add_f16_e32 v8, v17, v26
	v_and_b32_e32 v17, 0xffff, v16
	s_delay_alu instid0(VALU_DEP_3) | instskip(NEXT) | instid1(VALU_DEP_3)
	v_add_f16_e32 v7, v7, v26
	v_fmac_f16_e32 v56, -0.5, v8
	v_and_b32_e32 v8, 0xffff, v10
	v_lshlrev_b16 v10, 1, v49
	s_delay_alu instid0(VALU_DEP_4)
	v_pack_b32_f16 v61, v6, v7
	v_fmamk_f16 v6, v60, 0x3aee, v54
	v_fmamk_f16 v7, v59, 0xbaee, v56
	v_mul_u32_u24_e32 v8, 9, v8
	v_and_b32_e32 v10, 0xffff, v10
	v_fmac_f16_e32 v54, 0xbaee, v60
	v_fmac_f16_e32 v56, 0x3aee, v59
	v_pack_b32_f16 v62, v6, v7
	v_mul_u32_u24_e32 v6, 0xaaab, v17
	v_lshlrev_b16 v7, 1, v5
	v_add_lshl_u32 v65, v8, v11, 2
	v_lshlrev_b16 v8, 1, v3
	v_lshlrev_b16 v11, 1, v58
	v_lshrrev_b32_e32 v63, 17, v6
	v_and_b32_e32 v7, 0xffff, v7
	v_lshlrev_b32_e32 v10, 2, v10
	v_and_b32_e32 v8, 0xffff, v8
	v_and_b32_e32 v11, 0xffff, v11
	v_mul_lo_u16 v6, v63, 3
	v_lshlrev_b32_e32 v7, 2, v7
	v_pack_b32_f16 v41, v54, v56
	v_lshlrev_b32_e32 v8, 2, v8
	v_lshlrev_b32_e32 v11, 2, v11
	v_sub_nc_u16 v64, v16, v6
	s_delay_alu instid0(VALU_DEP_1) | instskip(NEXT) | instid1(VALU_DEP_1)
	v_lshlrev_b16 v6, 1, v64
	v_and_b32_e32 v6, 0xffff, v6
	s_delay_alu instid0(VALU_DEP_1)
	v_lshlrev_b32_e32 v6, 2, v6
	s_clause 0x5
	global_load_b64 v[85:86], v6, s[6:7]
	global_load_b64 v[83:84], v7, s[6:7]
	;; [unrolled: 1-line block ×6, first 2 shown]
	ds_load_2addr_b32 v[6:7], v240 offset0:88 offset1:196
	ds_load_2addr_b32 v[8:9], v138 offset0:16 offset1:124
	;; [unrolled: 1-line block ×12, first 2 shown]
	s_waitcnt vmcnt(0) lgkmcnt(0)
	s_barrier
	buffer_gl0_inv
	scratch_store_b32 off, v65, off offset:288 ; 4-byte Folded Spill
	ds_store_2addr_b32 v65, v61, v62 offset1:3
	ds_store_b32 v65, v41 offset:24
	ds_store_2addr_b32 v50, v19, v46 offset1:3
	v_mad_u16 v19, v42, 9, v44
	v_lshrrev_b32_e32 v44, 16, v71
	v_lshrrev_b32_e32 v47, 16, v6
	;; [unrolled: 1-line block ×3, first 2 shown]
	v_mul_f16_e32 v46, v10, v53
	v_and_b32_e32 v19, 0xffff, v19
	v_mul_f16_e32 v42, v8, v44
	v_mov_b32_e32 v54, v44
	v_lshrrev_b32_e32 v44, 16, v10
	ds_store_b32 v52, v55 offset:24
	v_lshlrev_b32_e32 v19, 2, v19
	v_fmac_f16_e32 v42, v41, v71
	v_mul_f16_e32 v41, v41, v54
	v_fmac_f16_e32 v46, v44, v72
	v_mul_f16_e32 v44, v44, v53
	s_delay_alu instid0(VALU_DEP_4) | instskip(NEXT) | instid1(VALU_DEP_4)
	v_add_f16_e32 v50, v47, v42
	v_fma_f16 v8, v8, v71, -v41
	s_delay_alu instid0(VALU_DEP_4) | instskip(NEXT) | instid1(VALU_DEP_4)
	v_sub_f16_e32 v51, v42, v46
	v_fma_f16 v10, v10, v72, -v44
	v_add_f16_e32 v42, v42, v46
	v_add_f16_e32 v46, v50, v46
	;; [unrolled: 1-line block ×3, first 2 shown]
	s_delay_alu instid0(VALU_DEP_4) | instskip(SKIP_2) | instid1(VALU_DEP_4)
	v_add_f16_e32 v44, v8, v10
	v_sub_f16_e32 v8, v8, v10
	v_fmac_f16_e32 v47, -0.5, v42
	v_add_f16_e32 v41, v41, v10
	s_delay_alu instid0(VALU_DEP_4) | instskip(SKIP_1) | instid1(VALU_DEP_4)
	v_fma_f16 v6, -0.5, v44, v6
	v_lshrrev_b32_e32 v44, 16, v235
	v_fmamk_f16 v42, v8, 0xbaee, v47
	s_delay_alu instid0(VALU_DEP_4)
	v_pack_b32_f16 v10, v41, v46
	v_mov_b32_e32 v46, v19
	v_fmamk_f16 v41, v51, 0x3aee, v6
	v_fmac_f16_e32 v6, 0xbaee, v51
	v_fmac_f16_e32 v47, 0x3aee, v8
	scratch_store_b32 off, v52, off offset:292 ; 4-byte Folded Spill
	v_pack_b32_f16 v41, v41, v42
	v_pack_b32_f16 v6, v6, v47
	ds_store_2addr_b32 v19, v10, v41 offset1:3
	v_lshrrev_b32_e32 v10, 16, v9
	v_lshrrev_b32_e32 v41, 16, v234
	ds_store_b32 v46, v6 offset:24
	v_mad_u16 v6, v43, 9, v45
	v_mul_f16_e32 v19, v10, v41
	s_delay_alu instid0(VALU_DEP_2) | instskip(NEXT) | instid1(VALU_DEP_2)
	v_and_b32_e32 v6, 0xffff, v6
	v_fma_f16 v19, v9, v234, -v19
	v_mul_f16_e32 v9, v9, v41
	v_lshrrev_b32_e32 v41, 16, v11
	s_delay_alu instid0(VALU_DEP_4) | instskip(NEXT) | instid1(VALU_DEP_3)
	v_lshlrev_b32_e32 v6, 2, v6
	v_fmac_f16_e64 v9, v10, v234
	s_delay_alu instid0(VALU_DEP_3) | instskip(SKIP_1) | instid1(VALU_DEP_2)
	v_mul_f16_e32 v42, v41, v44
	v_lshrrev_b32_e32 v10, 16, v7
	v_fma_f16 v42, v11, v235, -v42
	v_mul_f16_e32 v11, v11, v44
	s_delay_alu instid0(VALU_DEP_2) | instskip(NEXT) | instid1(VALU_DEP_2)
	v_add_f16_e32 v8, v19, v42
	v_fmac_f16_e64 v11, v41, v235
	v_add_f16_e32 v41, v7, v19
	v_sub_f16_e32 v19, v19, v42
	s_delay_alu instid0(VALU_DEP_4) | instskip(SKIP_3) | instid1(VALU_DEP_3)
	v_fmac_f16_e32 v7, -0.5, v8
	v_add_f16_e32 v8, v10, v9
	v_add_f16_e32 v44, v9, v11
	v_sub_f16_e32 v9, v9, v11
	v_add_f16_e32 v8, v8, v11
	s_delay_alu instid0(VALU_DEP_3)
	v_fmac_f16_e32 v10, -0.5, v44
	v_add_f16_e32 v11, v41, v42
	v_mov_b32_e32 v42, v6
	scratch_store_b32 off, v46, off offset:296 ; 4-byte Folded Spill
	v_fmamk_f16 v41, v19, 0xbaee, v10
	v_pack_b32_f16 v8, v11, v8
	v_fmamk_f16 v11, v9, 0x3aee, v7
	v_fmac_f16_e32 v7, 0xbaee, v9
	v_fmac_f16_e32 v10, 0x3aee, v19
	s_delay_alu instid0(VALU_DEP_3)
	v_pack_b32_f16 v11, v11, v41
	ds_store_2addr_b32 v6, v8, v11 offset1:3
	v_pack_b32_f16 v6, v7, v10
	v_lshrrev_b32_e32 v7, 16, v14
	v_lshrrev_b32_e32 v11, 16, v12
	ds_store_b32 v42, v6 offset:24
	v_mad_u16 v6, v63, 9, v64
	s_delay_alu instid0(VALU_DEP_1) | instskip(NEXT) | instid1(VALU_DEP_1)
	v_and_b32_e32 v6, 0xffff, v6
	v_lshlrev_b32_e32 v6, 2, v6
	v_lshrrev_b32_e32 v9, 16, v85
	v_lshrrev_b32_e32 v43, 16, v86
	s_delay_alu instid0(VALU_DEP_2) | instskip(SKIP_2) | instid1(VALU_DEP_4)
	v_mul_f16_e32 v8, v14, v9
	v_mov_b32_e32 v44, v9
	v_lshrrev_b32_e32 v9, 16, v22
	v_mul_f16_e32 v10, v22, v43
	v_lshrrev_b32_e32 v208, 16, v69
	v_fmac_f16_e32 v8, v7, v85
	v_mul_f16_e32 v7, v7, v44
	v_lshrrev_b32_e32 v232, 16, v70
	v_fmac_f16_e32 v10, v9, v86
	v_mul_f16_e32 v9, v9, v43
	v_add_f16_e32 v19, v11, v8
	v_fma_f16 v7, v14, v85, -v7
	s_delay_alu instid0(VALU_DEP_4) | instskip(NEXT) | instid1(VALU_DEP_4)
	v_add_f16_e32 v41, v8, v10
	v_fma_f16 v9, v22, v86, -v9
	v_sub_f16_e32 v8, v8, v10
	s_delay_alu instid0(VALU_DEP_4)
	v_add_f16_e32 v14, v12, v7
	v_add_f16_e32 v10, v19, v10
	v_fmac_f16_e32 v11, -0.5, v41
	v_add_f16_e32 v19, v7, v9
	v_sub_f16_e32 v7, v7, v9
	v_add_f16_e32 v14, v14, v9
	v_mov_b32_e32 v22, v6
	scratch_store_b32 off, v42, off offset:300 ; 4-byte Folded Spill
	v_pack_b32_f16 v9, v14, v10
	v_fma_f16 v10, -0.5, v19, v12
	v_fmamk_f16 v14, v7, 0xbaee, v11
	v_lshrrev_b32_e32 v19, 16, v84
	v_fmac_f16_e32 v11, 0x3aee, v7
	v_lshrrev_b32_e32 v7, 16, v13
	v_fmamk_f16 v12, v8, 0x3aee, v10
	v_fmac_f16_e32 v10, 0xbaee, v8
	s_delay_alu instid0(VALU_DEP_2) | instskip(SKIP_1) | instid1(VALU_DEP_3)
	v_pack_b32_f16 v12, v12, v14
	v_lshrrev_b32_e32 v14, 16, v23
	v_pack_b32_f16 v10, v10, v11
	ds_store_2addr_b32 v6, v9, v12 offset1:3
	v_lshrrev_b32_e32 v6, 16, v15
	v_lshrrev_b32_e32 v12, 16, v83
	ds_store_b32 v22, v10 offset:24
	v_mul_f16_e32 v9, v6, v12
	v_mul_f16_e32 v12, v15, v12
	s_delay_alu instid0(VALU_DEP_2) | instskip(SKIP_2) | instid1(VALU_DEP_4)
	v_fma_f16 v9, v15, v83, -v9
	v_mul_f16_e32 v15, v14, v19
	v_mul_f16_e32 v19, v23, v19
	v_fmac_f16_e32 v12, v6, v83
	s_delay_alu instid0(VALU_DEP_4) | instskip(NEXT) | instid1(VALU_DEP_4)
	v_add_f16_e32 v8, v13, v9
	v_fma_f16 v15, v23, v84, -v15
	s_delay_alu instid0(VALU_DEP_4) | instskip(NEXT) | instid1(VALU_DEP_2)
	v_fmac_f16_e32 v19, v14, v84
	v_add_f16_e32 v6, v9, v15
	s_delay_alu instid0(VALU_DEP_2) | instskip(SKIP_2) | instid1(VALU_DEP_4)
	v_add_f16_e32 v14, v12, v19
	v_add_f16_e32 v8, v8, v15
	v_sub_f16_e32 v9, v9, v15
	v_fmac_f16_e32 v13, -0.5, v6
	v_add_f16_e32 v6, v7, v12
	v_sub_f16_e32 v12, v12, v19
	v_fmac_f16_e32 v7, -0.5, v14
	v_mov_b32_e32 v14, v4
	scratch_store_b32 off, v22, off offset:304 ; 4-byte Folded Spill
	v_add_f16_e32 v6, v6, v19
	s_delay_alu instid0(VALU_DEP_1)
	v_pack_b32_f16 v5, v8, v6
	v_fmamk_f16 v6, v12, 0x3aee, v13
	v_fmamk_f16 v8, v9, 0xbaee, v7
	v_fmac_f16_e32 v13, 0xbaee, v12
	v_fmac_f16_e32 v7, 0x3aee, v9
	v_lshrrev_b32_e32 v12, 16, v214
	v_lshrrev_b32_e32 v9, 16, v24
	v_pack_b32_f16 v6, v6, v8
	s_delay_alu instid0(VALU_DEP_3)
	v_mul_f16_e32 v8, v33, v12
	ds_store_2addr_b32 v4, v5, v6 offset1:3
	v_pack_b32_f16 v4, v13, v7
	v_lshrrev_b32_e32 v7, 16, v213
	v_lshrrev_b32_e32 v5, 16, v26
	ds_store_b32 v14, v4 offset:24
	v_mul_f16_e32 v6, v26, v7
	v_mov_b32_e32 v13, v7
	v_lshrrev_b32_e32 v7, 16, v33
	s_delay_alu instid0(VALU_DEP_3) | instskip(NEXT) | instid1(VALU_DEP_3)
	v_fmac_f16_e64 v6, v5, v213
	v_mul_f16_e32 v5, v5, v13
	s_delay_alu instid0(VALU_DEP_3)
	v_fmac_f16_e64 v8, v7, v214
	v_mul_f16_e32 v7, v7, v12
	v_mov_b32_e32 v12, v2
	scratch_store_b32 off, v14, off offset:308 ; 4-byte Folded Spill
	v_add_f16_e32 v10, v9, v6
	v_add_f16_e32 v11, v6, v8
	v_fma_f16 v5, v26, v213, -v5
	v_fma_f16 v7, v33, v214, -v7
	v_sub_f16_e32 v6, v6, v8
	v_add_f16_e32 v8, v10, v8
	v_fmac_f16_e32 v9, -0.5, v11
	v_add_f16_e32 v10, v24, v5
	v_add_f16_e32 v11, v5, v7
	v_sub_f16_e32 v5, v5, v7
	s_delay_alu instid0(VALU_DEP_3) | instskip(NEXT) | instid1(VALU_DEP_3)
	v_add_f16_e32 v10, v10, v7
	v_fma_f16 v4, -0.5, v11, v24
	v_lshrrev_b32_e32 v11, 16, v210
	s_delay_alu instid0(VALU_DEP_3) | instskip(NEXT) | instid1(VALU_DEP_3)
	v_pack_b32_f16 v3, v10, v8
	v_fmamk_f16 v7, v6, 0x3aee, v4
	v_fmamk_f16 v8, v5, 0xbaee, v9
	v_fmac_f16_e32 v9, 0x3aee, v5
	v_lshrrev_b32_e32 v5, 16, v25
	v_fmac_f16_e32 v4, 0xbaee, v6
	s_delay_alu instid0(VALU_DEP_4) | instskip(SKIP_1) | instid1(VALU_DEP_3)
	v_pack_b32_f16 v7, v7, v8
	v_lshrrev_b32_e32 v8, 16, v34
	v_pack_b32_f16 v4, v4, v9
	v_lshrrev_b32_e32 v9, 16, v74
	ds_store_2addr_b32 v2, v3, v7 offset1:3
	v_lshrrev_b32_e32 v2, 16, v27
	v_lshrrev_b32_e32 v7, 16, v209
	v_mul_f16_e32 v10, v8, v11
	v_mul_f16_e32 v11, v34, v11
	ds_store_b32 v12, v4 offset:24
	v_mul_f16_e32 v3, v2, v7
	v_mul_f16_e32 v7, v27, v7
	v_fma_f16 v10, v34, v210, -v10
	v_fmac_f16_e64 v11, v8, v210
	s_delay_alu instid0(VALU_DEP_4) | instskip(NEXT) | instid1(VALU_DEP_4)
	v_fma_f16 v3, v27, v209, -v3
	v_fmac_f16_e64 v7, v2, v209
	s_delay_alu instid0(VALU_DEP_2) | instskip(SKIP_1) | instid1(VALU_DEP_3)
	v_add_f16_e32 v2, v3, v10
	v_add_f16_e32 v6, v25, v3
	;; [unrolled: 1-line block ×3, first 2 shown]
	v_sub_f16_e32 v3, v3, v10
	s_delay_alu instid0(VALU_DEP_4)
	v_fmac_f16_e32 v25, -0.5, v2
	v_add_f16_e32 v2, v5, v7
	v_sub_f16_e32 v7, v7, v11
	v_fmac_f16_e32 v5, -0.5, v8
	v_add_f16_e32 v6, v6, v10
	v_mov_b32_e32 v8, v0
	scratch_store_b32 off, v12, off offset:312 ; 4-byte Folded Spill
	v_add_f16_e32 v2, v2, v11
	v_fmamk_f16 v4, v3, 0xbaee, v5
	v_fmac_f16_e32 v5, 0x3aee, v3
	scratch_store_b32 off, v8, off offset:316 ; 4-byte Folded Spill
	v_lshrrev_b32_e32 v3, 16, v73
	v_pack_b32_f16 v1, v6, v2
	v_fmamk_f16 v2, v7, 0x3aee, v25
	v_fmac_f16_e32 v25, 0xbaee, v7
	s_delay_alu instid0(VALU_DEP_4) | instskip(NEXT) | instid1(VALU_DEP_3)
	v_mov_b32_e32 v10, v3
	v_pack_b32_f16 v2, v2, v4
	v_mul_f16_e32 v4, v39, v9
	ds_store_2addr_b32 v0, v1, v2 offset1:3
	v_lshrrev_b32_e32 v1, 16, v37
	v_mul_f16_e32 v2, v37, v3
	v_pack_b32_f16 v0, v25, v5
	v_lshrrev_b32_e32 v3, 16, v39
	v_lshrrev_b32_e32 v5, 16, v35
	s_delay_alu instid0(VALU_DEP_4) | instskip(SKIP_1) | instid1(VALU_DEP_4)
	v_fmac_f16_e32 v2, v1, v73
	v_mul_f16_e32 v1, v1, v10
	v_fmac_f16_e32 v4, v3, v74
	v_mul_f16_e32 v3, v3, v9
	ds_store_b32 v8, v0 offset:24
	v_add_f16_e32 v6, v5, v2
	v_fma_f16 v1, v37, v73, -v1
	v_add_f16_e32 v7, v2, v4
	v_sub_f16_e32 v2, v2, v4
	v_fma_f16 v3, v39, v74, -v3
	v_add_f16_e32 v4, v6, v4
	v_add_f16_e32 v6, v35, v1
	v_fmac_f16_e32 v5, -0.5, v7
	v_mad_u16 v0, v48, 9, v49
	v_add_f16_e32 v7, v1, v3
	v_sub_f16_e32 v1, v1, v3
	v_add_f16_e32 v6, v6, v3
	v_mul_f16_e64 v9, v40, v232
	v_and_b32_e32 v0, 0xffff, v0
	s_delay_alu instid0(VALU_DEP_3) | instskip(SKIP_2) | instid1(VALU_DEP_4)
	v_pack_b32_f16 v3, v6, v4
	v_fma_f16 v4, -0.5, v7, v35
	v_fmamk_f16 v7, v1, 0xbaee, v5
	v_lshlrev_b32_e32 v0, 2, v0
	v_fmac_f16_e32 v5, 0x3aee, v1
	s_delay_alu instid0(VALU_DEP_4) | instskip(SKIP_1) | instid1(VALU_DEP_4)
	v_fmamk_f16 v6, v2, 0x3aee, v4
	v_fmac_f16_e32 v4, 0xbaee, v2
	v_mov_b32_e32 v12, v0
	s_delay_alu instid0(VALU_DEP_3) | instskip(SKIP_1) | instid1(VALU_DEP_4)
	v_pack_b32_f16 v6, v6, v7
	v_lshrrev_b32_e32 v7, 16, v40
	v_pack_b32_f16 v2, v4, v5
	v_mad_u16 v5, v57, 9, v58
	scratch_store_b32 off, v12, off offset:324 ; 4-byte Folded Spill
	ds_store_2addr_b32 v0, v3, v6 offset1:3
	v_lshrrev_b32_e32 v0, 16, v38
	v_mul_f16_e64 v8, v7, v232
	v_mul_f16_e64 v6, v38, v208
	v_fmac_f16_e32 v9, v7, v70
	v_lshrrev_b32_e32 v7, 16, v36
	v_mul_f16_e64 v3, v0, v208
	v_fma_f16 v8, v40, v70, -v8
	v_fmac_f16_e32 v6, v0, v69
	ds_store_b32 v12, v2 offset:24
	v_fma_f16 v3, v38, v69, -v3
	s_delay_alu instid0(VALU_DEP_1) | instskip(SKIP_1) | instid1(VALU_DEP_2)
	v_add_f16_e32 v0, v3, v8
	v_add_f16_e32 v10, v36, v3
	v_fmac_f16_e32 v36, -0.5, v0
	v_sub_f16_e32 v0, v6, v9
	s_delay_alu instid0(VALU_DEP_3) | instskip(NEXT) | instid1(VALU_DEP_2)
	v_add_f16_e32 v1, v10, v8
	v_fmamk_f16 v11, v0, 0x3aee, v36
	v_fmac_f16_e32 v36, 0xbaee, v0
	v_add_f16_e32 v0, v6, v9
	v_add_f16_e32 v6, v7, v6
	s_delay_alu instid0(VALU_DEP_2) | instskip(SKIP_1) | instid1(VALU_DEP_3)
	v_fmac_f16_e32 v7, -0.5, v0
	v_sub_f16_e32 v0, v3, v8
	v_add_f16_e32 v4, v6, v9
	s_delay_alu instid0(VALU_DEP_2) | instskip(SKIP_1) | instid1(VALU_DEP_3)
	v_fmamk_f16 v3, v0, 0xbaee, v7
	v_fmac_f16_e32 v7, 0x3aee, v0
	v_pack_b32_f16 v1, v1, v4
	s_delay_alu instid0(VALU_DEP_3) | instskip(SKIP_1) | instid1(VALU_DEP_4)
	v_pack_b32_f16 v2, v11, v3
	v_and_b32_e32 v3, 0xffff, v5
	v_pack_b32_f16 v0, v36, v7
	s_delay_alu instid0(VALU_DEP_2)
	v_lshlrev_b32_e32 v3, 2, v3
	scratch_store_b32 off, v3, off offset:320 ; 4-byte Folded Spill
	ds_store_2addr_b32 v3, v1, v2 offset1:3
	ds_store_b32 v3, v0 offset:24
	v_mul_u32_u24_e32 v0, 0xe38f, v32
	s_waitcnt lgkmcnt(0)
	s_waitcnt_vscnt null, 0x0
	s_barrier
	buffer_gl0_inv
	v_lshrrev_b32_e32 v19, 19, v0
	s_delay_alu instid0(VALU_DEP_1) | instskip(NEXT) | instid1(VALU_DEP_1)
	v_mul_lo_u16 v0, v19, 9
	v_sub_nc_u16 v22, v29, v0
	s_delay_alu instid0(VALU_DEP_1) | instskip(NEXT) | instid1(VALU_DEP_1)
	v_mul_lo_u16 v0, v22, 36
	v_and_b32_e32 v0, 0xffff, v0
	s_delay_alu instid0(VALU_DEP_1) | instskip(NEXT) | instid1(VALU_DEP_1)
	v_add_co_u32 v0, s2, s6, v0
	v_add_co_ci_u32_e64 v1, null, s7, 0, s2
	s_clause 0x2
	global_load_b32 v219, v[0:1], off offset:56
	global_load_b128 v[143:146], v[0:1], off offset:24
	global_load_b128 v[201:204], v[0:1], off offset:40
	ds_load_2addr_b32 v[10:11], v82 offset0:96 offset1:204
	ds_load_2addr_b32 v[12:13], v133 offset0:104 offset1:212
	;; [unrolled: 1-line block ×10, first 2 shown]
	s_waitcnt lgkmcnt(9)
	v_lshrrev_b32_e32 v0, 16, v10
	s_waitcnt lgkmcnt(6)
	v_lshrrev_b32_e32 v87, 16, v9
	;; [unrolled: 2-line block ×7, first 2 shown]
	s_waitcnt vmcnt(2)
	v_lshrrev_b32_e32 v5, 16, v219
	s_waitcnt vmcnt(1)
	v_lshrrev_b32_e32 v1, 16, v144
	v_lshrrev_b32_e32 v2, 16, v146
	s_waitcnt vmcnt(0)
	v_lshrrev_b32_e32 v3, 16, v202
	v_lshrrev_b32_e32 v4, 16, v204
	;; [unrolled: 1-line block ×3, first 2 shown]
	v_mul_f16_e32 v23, v10, v1
	v_mul_f16_e32 v33, v12, v2
	;; [unrolled: 1-line block ×4, first 2 shown]
	v_lshrrev_b32_e32 v206, 16, v203
	v_fmac_f16_e64 v23, v0, v144
	v_mul_f16_e32 v0, v0, v1
	v_lshrrev_b32_e32 v1, 16, v12
	v_lshrrev_b32_e32 v140, 16, v143
	;; [unrolled: 1-line block ×3, first 2 shown]
	v_mul_f16_e64 v56, v94, v222
	v_fma_f16 v10, v10, v144, -v0
	v_fmac_f16_e64 v33, v1, v146
	v_mul_f16_e32 v1, v1, v2
	v_lshrrev_b32_e32 v2, 16, v14
	v_mul_f16_e64 v57, v96, v206
	v_add_f16_e32 v50, v36, v10
	v_mul_f16_e64 v42, v39, v140
	v_fma_f16 v12, v12, v146, -v1
	v_fmac_f16_e64 v34, v2, v202
	v_mul_f16_e32 v2, v2, v3
	v_lshrrev_b32_e32 v3, 16, v8
	v_mul_f16_e64 v51, v91, v139
	v_mul_f16_e32 v58, v121, v5
	s_delay_alu instid0(VALU_DEP_4) | instskip(NEXT) | instid1(VALU_DEP_4)
	v_fma_f16 v14, v14, v202, -v2
	v_fmac_f16_e64 v35, v3, v204
	v_mul_f16_e32 v3, v3, v4
	v_lshrrev_b32_e32 v2, 16, v94
	v_lshrrev_b32_e32 v4, 16, v121
	v_add_f16_e32 v0, v12, v14
	s_delay_alu instid0(VALU_DEP_4) | instskip(SKIP_2) | instid1(VALU_DEP_4)
	v_fma_f16 v8, v8, v204, -v3
	v_lshrrev_b32_e32 v3, 16, v96
	v_fmac_f16_e64 v56, v2, v201
	v_fma_f16 v40, -0.5, v0, v36
	v_mul_f16_e64 v2, v2, v222
	v_add_f16_e32 v0, v10, v8
	v_sub_f16_e32 v1, v14, v8
	v_fmac_f16_e64 v57, v3, v203
	v_mul_f16_e64 v3, v3, v206
	v_fmac_f16_e64 v58, v4, v219
	v_fmac_f16_e32 v36, -0.5, v0
	v_sub_f16_e32 v0, v12, v10
	v_mul_f16_e32 v4, v4, v5
	v_fma_f16 v60, v94, v201, -v2
	v_fma_f16 v59, v96, v203, -v3
	v_sub_f16_e32 v92, v56, v57
	v_add_f16_e32 v43, v0, v1
	v_lshrrev_b32_e32 v0, 16, v39
	v_lshrrev_b32_e32 v1, 16, v91
	v_fma_f16 v61, v121, v219, -v4
	v_sub_f16_e32 v96, v60, v59
	v_sub_f16_e32 v94, v23, v35
	v_fmac_f16_e64 v42, v0, v143
	v_mul_f16_e64 v0, v0, v140
	v_fmac_f16_e64 v51, v1, v145
	v_mul_f16_e64 v1, v1, v139
	v_lshrrev_b32_e32 v3, 16, v37
	v_lshrrev_b32_e32 v5, 16, v11
	v_fma_f16 v48, v39, v143, -v0
	v_add_f16_e32 v0, v60, v59
	v_fma_f16 v62, v91, v145, -v1
	v_sub_f16_e32 v1, v59, v61
	v_add_f16_e32 v106, v42, v51
	v_sub_f16_e32 v99, v51, v58
	v_fma_f16 v49, -0.5, v0, v48
	v_add_f16_e32 v0, v62, v61
	v_add_f16_e32 v105, v48, v62
	v_sub_f16_e32 v91, v33, v34
	v_sub_f16_e32 v102, v62, v61
	s_delay_alu instid0(VALU_DEP_4) | instskip(SKIP_1) | instid1(VALU_DEP_2)
	v_fmac_f16_e32 v48, -0.5, v0
	v_sub_f16_e32 v0, v60, v62
	v_fmamk_f16 v103, v92, 0xbb9c, v48
	s_delay_alu instid0(VALU_DEP_2) | instskip(SKIP_4) | instid1(VALU_DEP_4)
	v_add_f16_e32 v64, v0, v1
	v_add_f16_e32 v0, v56, v57
	v_sub_f16_e32 v1, v57, v58
	v_fmac_f16_e32 v48, 0x3b9c, v92
	v_fmac_f16_e32 v103, 0x38b4, v99
	v_fma_f16 v63, -0.5, v0, v42
	v_add_f16_e32 v0, v51, v58
	s_delay_alu instid0(VALU_DEP_4) | instskip(NEXT) | instid1(VALU_DEP_4)
	v_fmac_f16_e32 v48, 0xb8b4, v99
	v_fmac_f16_e32 v103, 0x34f2, v64
	s_delay_alu instid0(VALU_DEP_3) | instskip(SKIP_1) | instid1(VALU_DEP_4)
	v_fmac_f16_e32 v42, -0.5, v0
	v_sub_f16_e32 v0, v56, v51
	v_fmac_f16_e32 v48, 0x34f2, v64
	s_delay_alu instid0(VALU_DEP_3) | instskip(NEXT) | instid1(VALU_DEP_3)
	v_fmamk_f16 v104, v96, 0x3b9c, v42
	v_add_f16_e32 v101, v0, v1
	v_mul_lo_u16 v0, v18, 57
	v_fmac_f16_e32 v42, 0xbb9c, v96
	v_fmamk_f16 v18, v91, 0xbb9c, v36
	v_fmac_f16_e32 v36, 0x3b9c, v91
	v_mul_f16_e32 v2, 0xb4f2, v48
	v_lshrrev_b16 v0, 9, v0
	v_fmac_f16_e32 v42, 0x38b4, v102
	v_fmac_f16_e32 v104, 0xb8b4, v102
	;; [unrolled: 1-line block ×4, first 2 shown]
	v_mul_lo_u16 v1, v0, 9
	v_fmac_f16_e32 v42, 0x34f2, v101
	v_and_b32_e32 v0, 0xffff, v0
	v_fmac_f16_e32 v36, 0x34f2, v43
	v_fmac_f16_e32 v104, 0x34f2, v101
	v_sub_nc_u16 v1, v28, v1
	v_fmac_f16_e32 v2, 0x3b9c, v42
	v_mul_u32_u24_e32 v0, 0x5a, v0
	v_fmac_f16_e32 v18, 0x34f2, v43
	s_delay_alu instid0(VALU_DEP_4) | instskip(NEXT) | instid1(VALU_DEP_4)
	v_and_b32_e32 v1, 0xff, v1
	v_add_f16_e32 v110, v36, v2
	v_sub_f16_e32 v109, v36, v2
	v_lshrrev_b32_e32 v36, 16, v13
	s_delay_alu instid0(VALU_DEP_4)
	v_mad_u64_u32 v[52:53], null, v1, 36, s[6:7]
	s_clause 0x2
	global_load_b128 v[44:47], v[52:53], off offset:24
	global_load_b128 v[78:81], v[52:53], off offset:40
	global_load_b32 v108, v[52:53], off offset:56
	s_waitcnt vmcnt(2)
	v_lshrrev_b32_e32 v111, 16, v44
	v_lshrrev_b32_e32 v119, 16, v46
	s_waitcnt vmcnt(1)
	v_lshrrev_b32_e32 v252, 16, v78
	v_lshrrev_b32_e32 v249, 16, v80
	s_waitcnt vmcnt(0)
	v_lshrrev_b32_e32 v130, 16, v108
	v_mul_f16_e32 v2, v37, v111
	v_mul_f16_e32 v4, v3, v111
	v_mul_f16_e32 v7, v5, v119
	v_lshrrev_b32_e32 v184, 16, v45
	v_lshrrev_b32_e32 v134, 16, v47
	v_fmac_f16_e32 v2, v3, v44
	v_mul_lo_u16 v3, v21, 57
	v_fma_f16 v4, v37, v44, -v4
	v_fma_f16 v7, v11, v46, -v7
	v_mul_f16_e32 v11, v11, v119
	v_mul_f16_e64 v37, v36, v252
	v_lshrrev_b16 v3, 9, v3
	v_mul_lo_u16 v21, 0xb7, v21
	s_delay_alu instid0(VALU_DEP_4) | instskip(NEXT) | instid1(VALU_DEP_4)
	v_fmac_f16_e32 v11, v5, v46
	v_fma_f16 v100, v13, v78, -v37
	v_lshrrev_b32_e32 v37, 16, v15
	v_mul_lo_u16 v5, v3, 9
	v_mul_f16_e64 v13, v13, v252
	v_add_f16_e64 v254, v2, v11
	v_and_b32_e32 v3, 0xffff, v3
	v_mul_f16_e64 v39, v37, v249
	v_sub_nc_u16 v5, v20, v5
	v_fmac_f16_e32 v13, v36, v78
	s_delay_alu instid0(VALU_DEP_4) | instskip(NEXT) | instid1(VALU_DEP_4)
	v_mul_u32_u24_e32 v3, 0x5a, v3
	v_fma_f16 v113, v15, v80, -v39
	v_mul_f16_e64 v15, v15, v249
	v_and_b32_e32 v5, 0xff, v5
	v_mul_f16_e64 v39, v87, v130
	v_add_f16_e64 v254, v254, v13
	v_sub_f16_e64 v251, v100, v113
	v_fmac_f16_e32 v15, v37, v80
	v_mad_u64_u32 v[36:37], null, v5, 36, s[6:7]
	v_fma_f16 v114, v9, v108, -v39
	v_mul_f16_e64 v9, v9, v130
	s_delay_alu instid0(VALU_DEP_4) | instskip(SKIP_1) | instid1(VALU_DEP_4)
	v_sub_f16_e64 v147, v13, v15
	v_add_f16_e64 v254, v254, v15
	v_sub_f16_e64 v245, v114, v113
	global_load_b128 v[52:55], v[36:37], off offset:24
	v_fmac_f16_e32 v9, v87, v108
	v_sub_f16_e64 v250, v7, v114
	s_delay_alu instid0(VALU_DEP_2)
	v_sub_f16_e64 v246, v9, v15
	v_sub_f16_e64 v255, v11, v9
	v_add_f16_e64 v254, v254, v9
	s_waitcnt vmcnt(0)
	v_lshrrev_b32_e32 v115, 16, v52
	v_lshrrev_b32_e32 v112, 16, v54
	;; [unrolled: 1-line block ×3, first 2 shown]
	s_delay_alu instid0(VALU_DEP_3) | instskip(SKIP_1) | instid1(VALU_DEP_4)
	v_mul_f16_e32 v39, v97, v115
	v_mul_f16_e32 v124, v38, v115
	v_mul_f16_e64 v155, v90, v112
	s_delay_alu instid0(VALU_DEP_3) | instskip(SKIP_3) | instid1(VALU_DEP_1)
	v_fma_f16 v116, v38, v52, -v39
	ds_load_2addr_b32 v[38:39], v126 offset0:136 offset1:244
	v_fmac_f16_e64 v155, v128, v54
	v_fmac_f16_e32 v124, v97, v52
	v_add_f16_e64 v197, v124, v155
	s_waitcnt lgkmcnt(0)
	v_lshrrev_b32_e32 v98, 16, v38
	v_mul_f16_e64 v135, v38, v184
	v_lshrrev_b32_e32 v121, 16, v39
	s_delay_alu instid0(VALU_DEP_2) | instskip(SKIP_1) | instid1(VALU_DEP_1)
	v_fmac_f16_e64 v135, v98, v45
	v_mul_f16_e64 v98, v98, v184
	v_fma_f16 v136, v38, v45, -v98
	v_lshrrev_b32_e32 v98, 16, v53
	s_delay_alu instid0(VALU_DEP_1) | instskip(SKIP_1) | instid1(VALU_DEP_2)
	v_mul_f16_e32 v38, v121, v98
	v_mul_f16_e64 v141, v39, v98
	v_fma_f16 v137, v39, v53, -v38
	v_mul_f16_e64 v38, v128, v112
	s_delay_alu instid0(VALU_DEP_3) | instskip(SKIP_1) | instid1(VALU_DEP_3)
	v_fmac_f16_e64 v141, v121, v53
	v_lshrrev_b32_e32 v121, 16, v93
	v_fma_f16 v142, v90, v54, -v38
	ds_load_2addr_b32 v[38:39], v138 offset0:16 offset1:124
	v_add_f16_e64 v194, v116, v142
	s_waitcnt lgkmcnt(0)
	v_lshrrev_b32_e32 v90, 16, v38
	v_mul_f16_e64 v156, v38, v134
	v_mul_f16_e64 v165, v39, v177
	s_delay_alu instid0(VALU_DEP_2) | instskip(SKIP_1) | instid1(VALU_DEP_1)
	v_fmac_f16_e64 v156, v90, v47
	v_mul_f16_e64 v90, v90, v134
	v_fma_f16 v158, v38, v47, -v90
	v_lshrrev_b32_e32 v38, 16, v39
	s_delay_alu instid0(VALU_DEP_1) | instskip(SKIP_1) | instid1(VALU_DEP_2)
	v_mul_f16_e64 v90, v38, v177
	v_fmac_f16_e64 v165, v38, v55
	v_fma_f16 v159, v39, v55, -v90
	s_clause 0x1
	global_load_b32 v207, v[36:37], off offset:56
	global_load_b128 v[36:39], v[36:37], off offset:40
	ds_load_2addr_b32 v[128:129], v149 offset0:24 offset1:132
	s_waitcnt lgkmcnt(0)
	v_lshrrev_b32_e32 v174, 16, v129
	s_waitcnt vmcnt(1)
	v_lshrrev_b32_e32 v6, 16, v207
	s_waitcnt vmcnt(0)
	v_lshrrev_b32_e32 v253, 16, v36
	v_lshrrev_b32_e32 v118, 16, v37
	s_delay_alu instid0(VALU_DEP_3) | instskip(NEXT) | instid1(VALU_DEP_3)
	v_mul_f16_e64 v189, v188, v6
	v_mul_f16_e64 v87, v121, v253
	;; [unrolled: 1-line block ×3, first 2 shown]
	s_delay_alu instid0(VALU_DEP_4)
	v_mul_f16_e64 v176, v129, v118
	v_mul_f16_e64 v191, v120, v6
	v_fma_f16 v189, v120, v207, -v189
	v_fma_f16 v166, v93, v36, -v87
	v_lshrrev_b32_e32 v93, 16, v79
	v_lshrrev_b32_e32 v87, 16, v128
	v_fmac_f16_e64 v168, v121, v36
	ds_load_2addr_b32 v[120:121], v154 offset1:108
	v_fmac_f16_e64 v176, v174, v37
	v_mul_f16_e64 v169, v128, v93
	v_fmac_f16_e64 v191, v188, v207
	v_add_f16_e64 v193, v142, v189
	v_sub_f16_e64 v229, v142, v189
	s_delay_alu instid0(VALU_DEP_4) | instskip(SKIP_3) | instid1(VALU_DEP_4)
	v_fmac_f16_e64 v169, v87, v79
	v_mul_f16_e32 v87, v87, v93
	v_add_f16_e64 v196, v155, v191
	v_sub_f16_e64 v220, v155, v191
	v_add_f16_e64 v200, v156, v169
	s_delay_alu instid0(VALU_DEP_4) | instskip(SKIP_2) | instid1(VALU_DEP_3)
	v_fma_f16 v173, v128, v79, -v87
	v_mul_f16_e64 v87, v174, v118
	v_sub_f16_e64 v117, v156, v169
	v_add_f16_e64 v216, v158, v173
	s_delay_alu instid0(VALU_DEP_3)
	v_fma_f16 v175, v129, v37, -v87
	ds_load_2addr_b32 v[128:129], v228 offset0:32 offset1:140
	v_lshrrev_b32_e32 v87, 16, v38
	s_waitcnt lgkmcnt(1)
	v_add_f16_e64 v188, v121, v137
	v_fma_f16 v216, -0.5, v216, v120
	v_add_f16_e64 v174, v159, v175
	v_lshrrev_b32_e32 v239, 16, v120
	v_mul_f16_e64 v97, v178, v87
	v_mul_f16_e64 v180, v95, v87
	v_sub_f16_e64 v151, v158, v173
	v_fma_f16 v174, -0.5, v174, v121
	v_fma_f16 v200, -0.5, v200, v239
	v_fma_f16 v179, v95, v38, -v97
	v_lshrrev_b32_e32 v97, 16, v81
	v_fmac_f16_e64 v180, v178, v38
	s_waitcnt lgkmcnt(0)
	s_barrier
	v_sub_f16_e64 v195, v179, v189
	v_sub_f16_e64 v224, v166, v179
	;; [unrolled: 1-line block ×4, first 2 shown]
	v_lshrrev_b32_e32 v95, 16, v128
	v_mul_f16_e64 v181, v128, v97
	v_lshrrev_b32_e32 v183, 16, v129
	buffer_gl0_inv
	v_fmac_f16_e64 v181, v95, v81
	v_mul_f16_e32 v95, v95, v97
	s_delay_alu instid0(VALU_DEP_2) | instskip(NEXT) | instid1(VALU_DEP_2)
	v_sub_f16_e64 v244, v181, v169
	v_fma_f16 v128, v128, v81, -v95
	v_lshrrev_b32_e32 v95, 16, v39
	s_delay_alu instid0(VALU_DEP_2) | instskip(NEXT) | instid1(VALU_DEP_2)
	v_sub_f16_e64 v242, v128, v173
	v_mul_f16_e64 v186, v183, v95
	v_add_f16_e64 v233, v136, v128
	v_sub_f16_e64 v226, v136, v128
	s_delay_alu instid0(VALU_DEP_3) | instskip(SKIP_1) | instid1(VALU_DEP_4)
	v_fma_f16 v186, v129, v39, -v186
	v_mul_f16_e64 v129, v129, v95
	v_fma_f16 v233, -0.5, v233, v120
	v_add_f16_e64 v120, v120, v136
	v_fma_f16 v227, 0xbb9c, v226, v200
	v_add_f16_e64 v178, v137, v186
	v_fmac_f16_e64 v129, v183, v39
	v_lshrrev_b32_e32 v183, 16, v121
	v_sub_f16_e64 v192, v175, v186
	v_fmac_f16_e64 v227, 0xb8b4, v151
	v_fmac_f16_e64 v121, -0.5, v178
	v_sub_f16_e64 v178, v159, v137
	v_sub_f16_e64 v223, v141, v129
	v_fmac_f16_e64 v200, 0x3b9c, v226
	s_delay_alu instid0(VALU_DEP_3) | instskip(SKIP_1) | instid1(VALU_DEP_3)
	v_add_f16_e64 v178, v178, v192
	v_add_f16_e64 v192, v166, v179
	v_fmac_f16_e64 v200, 0x38b4, v151
	s_delay_alu instid0(VALU_DEP_2) | instskip(SKIP_2) | instid1(VALU_DEP_2)
	v_fma_f16 v192, -0.5, v192, v116
	v_fmac_f16_e64 v116, -0.5, v193
	v_sub_f16_e64 v193, v166, v142
	v_fma_f16 v215, 0xbb9c, v205, v116
	s_delay_alu instid0(VALU_DEP_2) | instskip(SKIP_2) | instid1(VALU_DEP_4)
	v_add_f16_e64 v193, v193, v195
	v_add_f16_e64 v195, v168, v180
	v_fmac_f16_e64 v116, 0x3b9c, v205
	v_fmac_f16_e64 v215, 0x38b4, v220
	s_delay_alu instid0(VALU_DEP_3) | instskip(SKIP_4) | instid1(VALU_DEP_4)
	v_fma_f16 v195, -0.5, v195, v124
	v_fmac_f16_e64 v124, -0.5, v196
	v_sub_f16_e64 v196, v168, v155
	v_fmac_f16_e64 v116, 0xb8b4, v220
	v_fmac_f16_e64 v215, 0x34f2, v193
	v_fma_f16 v225, 0x3b9c, v224, v124
	s_delay_alu instid0(VALU_DEP_4) | instskip(SKIP_4) | instid1(VALU_DEP_4)
	v_add_f16_e64 v196, v196, v198
	v_sub_f16_e64 v198, v165, v176
	v_fmac_f16_e64 v124, 0xbb9c, v224
	v_fmac_f16_e64 v116, 0x34f2, v193
	;; [unrolled: 1-line block ×3, first 2 shown]
	v_fma_f16 v199, 0xbb9c, v198, v121
	v_fmac_f16_e64 v121, 0x3b9c, v198
	v_fmac_f16_e64 v124, 0x38b4, v229
	v_mul_f16_e64 v217, 0xb4f2, v116
	v_fmac_f16_e64 v225, 0x34f2, v196
	v_fmac_f16_e64 v199, 0x38b4, v223
	;; [unrolled: 1-line block ×4, first 2 shown]
	s_delay_alu instid0(VALU_DEP_3) | instskip(NEXT) | instid1(VALU_DEP_3)
	v_fmac_f16_e64 v199, 0x34f2, v178
	v_fmac_f16_e64 v121, 0x34f2, v178
	s_delay_alu instid0(VALU_DEP_3) | instskip(SKIP_1) | instid1(VALU_DEP_2)
	v_fmac_f16_e64 v217, 0x3b9c, v124
	v_mul_f16_e32 v124, 0xb4f2, v124
	v_add_f16_e64 v236, v121, v217
	v_sub_f16_e64 v121, v121, v217
	v_sub_f16_e64 v217, v136, v158
	;; [unrolled: 1-line block ×3, first 2 shown]
	v_fmac_f16_e32 v124, 0xbb9c, v116
	s_delay_alu instid0(VALU_DEP_3) | instskip(SKIP_1) | instid1(VALU_DEP_1)
	v_add_f16_e64 v242, v217, v242
	v_sub_f16_e64 v217, v135, v156
	v_add_f16_e64 v244, v217, v244
	v_sub_f16_e64 v217, v7, v100
	s_delay_alu instid0(VALU_DEP_2) | instskip(NEXT) | instid1(VALU_DEP_2)
	v_fmac_f16_e64 v227, 0x34f2, v244
	v_add_f16_e64 v245, v217, v245
	v_sub_f16_e64 v217, v11, v13
	v_fmac_f16_e64 v200, 0x34f2, v244
	s_delay_alu instid0(VALU_DEP_2) | instskip(SKIP_1) | instid1(VALU_DEP_1)
	v_add_f16_e64 v246, v217, v246
	v_add_f16_e64 v217, v100, v113
	v_fma_f16 v247, -0.5, v217, v4
	v_add_f16_e64 v217, v13, v15
	s_delay_alu instid0(VALU_DEP_2) | instskip(NEXT) | instid1(VALU_DEP_2)
	v_fma_f16 v132, 0x3b9c, v255, v247
	v_fma_f16 v248, -0.5, v217, v2
	v_fmac_f16_e64 v247, 0xbb9c, v255
	s_delay_alu instid0(VALU_DEP_3) | instskip(NEXT) | instid1(VALU_DEP_3)
	v_fmac_f16_e64 v132, 0x38b4, v147
	v_fma_f16 v217, 0xbb9c, v250, v248
	v_fmac_f16_e64 v248, 0x3b9c, v250
	s_delay_alu instid0(VALU_DEP_4) | instskip(NEXT) | instid1(VALU_DEP_4)
	v_fmac_f16_e64 v247, 0xb8b4, v147
	v_fmac_f16_e64 v132, 0x34f2, v245
	s_delay_alu instid0(VALU_DEP_4) | instskip(NEXT) | instid1(VALU_DEP_4)
	v_fmac_f16_e64 v217, 0xb8b4, v251
	v_fmac_f16_e64 v248, 0x38b4, v251
	s_delay_alu instid0(VALU_DEP_4) | instskip(NEXT) | instid1(VALU_DEP_3)
	v_fmac_f16_e64 v247, 0x34f2, v245
	v_fmac_f16_e64 v217, 0x34f2, v246
	s_delay_alu instid0(VALU_DEP_3) | instskip(NEXT) | instid1(VALU_DEP_2)
	v_fmac_f16_e64 v248, 0x34f2, v246
	v_mul_f16_e64 v218, 0x38b4, v217
	s_delay_alu instid0(VALU_DEP_1) | instskip(SKIP_1) | instid1(VALU_DEP_1)
	v_fmac_f16_e64 v218, 0x3a79, v132
	v_mul_f16_e64 v132, 0xb8b4, v132
	v_fmac_f16_e64 v132, 0x3a79, v217
	v_add_lshl_u32 v217, v0, v1, 2
	v_add_f16_e64 v0, v120, v158
	v_add_f16_e64 v1, v239, v135
	v_add_f16_e32 v120, v4, v7
	v_add_f16_e64 v190, v227, v132
	s_delay_alu instid0(VALU_DEP_4) | instskip(NEXT) | instid1(VALU_DEP_4)
	v_add_f16_e64 v0, v0, v173
	v_add_f16_e64 v1, v1, v156
	s_delay_alu instid0(VALU_DEP_4)
	v_add_f16_e32 v120, v120, v100
	v_sub_f16_e32 v100, v100, v7
	v_add_f16_e32 v7, v7, v114
	v_add_f16_e64 v0, v0, v128
	v_add_f16_e64 v1, v1, v169
	v_add_f16_e32 v120, v120, v113
	v_sub_f16_e32 v113, v113, v114
	v_fmac_f16_e32 v4, -0.5, v7
	v_sub_f16_e64 v128, v173, v128
	v_add_f16_e64 v1, v1, v181
	v_add_f16_e32 v120, v120, v114
	v_add_f16_e32 v7, v100, v113
	;; [unrolled: 1-line block ×3, first 2 shown]
	v_sub_f16_e32 v11, v13, v11
	v_add_f16_e64 v243, v1, v254
	v_add_f16_e64 v148, v0, v120
	v_fma_f16 v13, 0xbb9c, v147, v4
	v_fmac_f16_e64 v4, 0x3b9c, v147
	v_fmac_f16_e32 v2, -0.5, v100
	v_sub_f16_e32 v9, v15, v9
	v_pack_b32_f16 v148, v148, v243
	v_sub_f16_e64 v243, v135, v181
	v_fmac_f16_e64 v13, 0x38b4, v255
	v_fmac_f16_e64 v4, 0xb8b4, v255
	v_add_f16_e64 v128, v136, v128
	v_sub_f16_e64 v136, v156, v135
	v_fma_f16 v221, 0x3b9c, v243, v216
	v_add_f16_e64 v135, v135, v181
	v_fmac_f16_e32 v13, 0x34f2, v7
	v_fmac_f16_e32 v4, 0x34f2, v7
	v_add_f16_e32 v7, v11, v9
	v_fmac_f16_e64 v221, 0x38b4, v117
	v_fma_f16 v9, 0x3b9c, v251, v2
	v_fma_f16 v156, 0xbb9c, v117, v233
	v_fmac_f16_e64 v233, 0x3b9c, v117
	v_fmac_f16_e64 v239, -0.5, v135
	v_fmac_f16_e64 v221, 0x34f2, v242
	v_fmac_f16_e64 v2, 0xbb9c, v251
	;; [unrolled: 1-line block ×5, first 2 shown]
	v_add_f16_e64 v230, v221, v218
	v_fma_f16 v114, 0x3b9c, v151, v239
	v_fmac_f16_e64 v2, 0x38b4, v250
	v_fmac_f16_e32 v9, 0x34f2, v7
	v_mul_f16_e32 v11, 0xbb9c, v13
	v_pack_b32_f16 v190, v230, v190
	v_fmac_f16_e64 v156, 0x34f2, v128
	v_fmac_f16_e64 v233, 0x34f2, v128
	;; [unrolled: 1-line block ×4, first 2 shown]
	ds_store_2addr_b32 v217, v148, v190 offset1:9
	v_sub_f16_e64 v148, v169, v181
	v_fmac_f16_e32 v2, 0x34f2, v7
	v_mul_f16_e32 v7, 0x3b9c, v9
	v_fmac_f16_e32 v11, 0x34f2, v9
	v_mul_f16_e32 v9, 0xb4f2, v4
	v_add_f16_e64 v128, v136, v148
	v_fmac_f16_e64 v239, 0x38b4, v226
	v_fmac_f16_e32 v7, 0x34f2, v13
	v_fmac_f16_e64 v216, 0xbb9c, v243
	v_fmac_f16_e32 v9, 0x3b9c, v2
	v_fmac_f16_e64 v114, 0x34f2, v128
	v_mul_f16_e32 v2, 0xb4f2, v2
	v_fmac_f16_e64 v239, 0x34f2, v128
	v_fmac_f16_e64 v216, 0xb8b4, v117
	v_sub_f16_e32 v0, v0, v120
	v_add_f16_e32 v13, v114, v11
	v_fmac_f16_e32 v2, 0xbb9c, v4
	v_add_f16_e64 v4, v156, v7
	v_fmac_f16_e64 v216, 0x34f2, v242
	v_sub_f16_e64 v1, v1, v254
	v_sub_f16_e32 v11, v114, v11
	v_add_f16_e64 v15, v239, v2
	v_pack_b32_f16 v4, v4, v13
	v_add_f16_e64 v13, v233, v9
	v_pack_b32_f16 v0, v0, v1
	v_sub_f16_e64 v1, v156, v7
	v_sub_f16_e64 v7, v227, v132
	;; [unrolled: 1-line block ×3, first 2 shown]
	v_pack_b32_f16 v13, v13, v15
	v_fma_f16 v113, 0x3b9c, v220, v192
	v_pack_b32_f16 v1, v1, v11
	v_sub_f16_e64 v11, v142, v166
	v_fma_f16 v117, 0x3b9c, v223, v174
	ds_store_2addr_b32 v217, v4, v13 offset0:18 offset1:27
	v_mul_f16_e64 v4, 0xba79, v247
	v_mul_f16_e64 v13, 0xba79, v248
	v_fmac_f16_e64 v113, 0x38b4, v205
	v_fmac_f16_e64 v117, 0x38b4, v198
	;; [unrolled: 1-line block ×6, first 2 shown]
	s_delay_alu instid0(VALU_DEP_4) | instskip(NEXT) | instid1(VALU_DEP_4)
	v_fmac_f16_e64 v192, 0xb8b4, v205
	v_add_f16_e64 v15, v216, v4
	s_delay_alu instid0(VALU_DEP_4) | instskip(NEXT) | instid1(VALU_DEP_4)
	v_add_f16_e64 v100, v200, v13
	v_fmac_f16_e64 v174, 0xb8b4, v198
	s_delay_alu instid0(VALU_DEP_2) | instskip(SKIP_4) | instid1(VALU_DEP_2)
	v_pack_b32_f16 v15, v15, v100
	v_sub_f16_e64 v100, v191, v180
	ds_store_2addr_b32 v217, v15, v0 offset0:36 offset1:45
	v_sub_f16_e64 v0, v221, v218
	v_sub_f16_e64 v15, v155, v168
	v_pack_b32_f16 v0, v0, v7
	s_delay_alu instid0(VALU_DEP_2)
	v_add_f16_e32 v15, v15, v100
	v_fma_f16 v100, 0xbb9c, v229, v195
	v_sub_f16_e64 v7, v141, v165
	v_fmac_f16_e64 v195, 0x3b9c, v229
	ds_store_2addr_b32 v217, v0, v1 offset0:54 offset1:63
	v_sub_f16_e64 v0, v233, v9
	v_sub_f16_e64 v1, v216, v4
	;; [unrolled: 1-line block ×5, first 2 shown]
	v_pack_b32_f16 v0, v0, v2
	v_fmac_f16_e64 v100, 0xb8b4, v224
	v_pack_b32_f16 v1, v1, v4
	v_add_lshl_u32 v216, v3, v5, 2
	v_add_f16_e64 v3, v183, v141
	v_add_f16_e32 v7, v7, v9
	v_add_f16_e64 v9, v194, v166
	ds_store_2addr_b32 v217, v0, v1 offset0:72 offset1:81
	v_sub_f16_e64 v0, v137, v159
	v_sub_f16_e64 v1, v186, v175
	v_add_f16_e32 v11, v11, v13
	v_add_f16_e64 v13, v197, v168
	v_fmac_f16_e32 v100, 0x34f2, v15
	v_add_f16_e64 v3, v3, v165
	v_add_f16_e32 v0, v0, v1
	v_add_f16_e64 v1, v188, v159
	v_add_f16_e64 v9, v9, v179
	v_add_f16_e64 v13, v13, v180
	v_fmac_f16_e32 v113, 0x34f2, v11
	v_mul_f16_e32 v114, 0x38b4, v100
	v_add_f16_e64 v1, v1, v175
	v_add_f16_e64 v3, v3, v176
	;; [unrolled: 1-line block ×4, first 2 shown]
	v_fmac_f16_e32 v114, 0x3a79, v113
	v_add_f16_e64 v1, v1, v186
	v_mul_f16_e32 v113, 0xb8b4, v113
	v_add_f16_e64 v3, v3, v129
	v_sub_f16_e64 v2, v137, v186
	v_sub_f16_e64 v4, v159, v175
	v_add_f16_e32 v5, v1, v9
	v_fmac_f16_e32 v113, 0x3a79, v100
	v_add_f16_e32 v100, v3, v13
	v_fmac_f16_e32 v117, 0x34f2, v0
	v_fmac_f16_e64 v195, 0x38b4, v224
	v_fmac_f16_e64 v192, 0x34f2, v11
	;; [unrolled: 1-line block ×3, first 2 shown]
	v_pack_b32_f16 v5, v5, v100
	v_add_f16_e64 v100, v165, v176
	v_add_f16_e64 v128, v117, v114
	v_fmac_f16_e64 v195, 0x34f2, v15
	v_mul_f16_e64 v0, 0xba79, v192
	v_sub_f16_e32 v1, v1, v9
	v_fma_f16 v100, -0.5, v100, v183
	v_sub_f16_e32 v3, v3, v13
	v_add_f16_e32 v13, v41, v23
	v_fmac_f16_e64 v0, 0x38b4, v195
	v_sub_f16_e32 v9, v51, v56
	v_fmamk_f16 v120, v2, 0xbb9c, v100
	v_fmac_f16_e32 v100, 0x3b9c, v2
	v_pack_b32_f16 v1, v1, v3
	v_add_f16_e32 v13, v13, v33
	v_fmamk_f16 v11, v99, 0x3b9c, v49
	v_fmac_f16_e32 v120, 0xb8b4, v4
	v_fmac_f16_e32 v100, 0x38b4, v4
	;; [unrolled: 1-line block ×3, first 2 shown]
	v_add_f16_e32 v13, v13, v34
	v_fmac_f16_e32 v11, 0x38b4, v92
	v_fmac_f16_e32 v120, 0x34f2, v7
	;; [unrolled: 1-line block ×4, first 2 shown]
	v_add_f16_e32 v13, v13, v35
	s_delay_alu instid0(VALU_DEP_4) | instskip(NEXT) | instid1(VALU_DEP_1)
	v_add_f16_e64 v132, v120, v113
	v_pack_b32_f16 v128, v128, v132
	ds_store_2addr_b32 v216, v5, v128 offset1:9
	v_add_f16_e64 v5, v141, v129
	v_sub_f16_e64 v128, v176, v129
	v_mul_f16_e64 v129, 0xbb9c, v215
	s_delay_alu instid0(VALU_DEP_3) | instskip(SKIP_1) | instid1(VALU_DEP_3)
	v_fmac_f16_e64 v183, -0.5, v5
	v_sub_f16_e64 v5, v165, v141
	v_fmac_f16_e64 v129, 0x34f2, v225
	s_delay_alu instid0(VALU_DEP_2) | instskip(NEXT) | instid1(VALU_DEP_4)
	v_add_f16_e64 v5, v5, v128
	v_fma_f16 v128, 0x3b9c, v4, v183
	v_fmac_f16_e64 v183, 0xbb9c, v4
	v_add_f16_e64 v4, v174, v0
	v_sub_f16_e64 v0, v174, v0
	s_delay_alu instid0(VALU_DEP_4) | instskip(NEXT) | instid1(VALU_DEP_4)
	v_fmac_f16_e64 v128, 0xb8b4, v2
	v_fmac_f16_e64 v183, 0x38b4, v2
	v_mul_f16_e64 v2, 0xba79, v195
	s_delay_alu instid0(VALU_DEP_3) | instskip(NEXT) | instid1(VALU_DEP_3)
	v_fmac_f16_e64 v128, 0x34f2, v5
	v_fmac_f16_e64 v183, 0x34f2, v5
	s_delay_alu instid0(VALU_DEP_3) | instskip(SKIP_1) | instid1(VALU_DEP_4)
	v_fmac_f16_e64 v2, 0xb8b4, v192
	v_mul_f16_e64 v5, 0x3b9c, v225
	v_add_f16_e64 v132, v128, v129
	s_delay_alu instid0(VALU_DEP_3) | instskip(NEXT) | instid1(VALU_DEP_3)
	v_add_f16_e32 v7, v100, v2
	v_fmac_f16_e64 v5, 0x34f2, v215
	v_sub_f16_e32 v2, v100, v2
	s_delay_alu instid0(VALU_DEP_3) | instskip(NEXT) | instid1(VALU_DEP_3)
	v_pack_b32_f16 v4, v4, v7
	v_add_f16_e64 v116, v199, v5
	v_sub_f16_e64 v3, v199, v5
	v_sub_f16_e64 v5, v128, v129
	v_pack_b32_f16 v0, v0, v2
	ds_store_2addr_b32 v216, v4, v1 offset0:36 offset1:45
	v_sub_f16_e32 v1, v117, v114
	v_sub_f16_e32 v4, v120, v113
	v_pack_b32_f16 v3, v3, v5
	v_sub_f16_e32 v2, v10, v8
	v_sub_f16_e32 v5, v35, v34
	;; [unrolled: 1-line block ×3, first 2 shown]
	v_pack_b32_f16 v1, v1, v4
	v_sub_f16_e32 v4, v23, v33
	v_pack_b32_f16 v116, v116, v132
	v_add_f16_e64 v132, v183, v124
	ds_store_2addr_b32 v216, v1, v3 offset0:54 offset1:63
	v_sub_f16_e64 v1, v183, v124
	v_add_f16_e32 v4, v4, v5
	v_add_f16_e32 v5, v105, v60
	v_sub_f16_e32 v3, v12, v14
	v_pack_b32_f16 v132, v236, v132
	v_pack_b32_f16 v1, v121, v1
	s_delay_alu instid0(VALU_DEP_4)
	v_add_f16_e32 v5, v5, v59
	ds_store_2addr_b32 v216, v116, v132 offset0:18 offset1:27
	ds_store_2addr_b32 v216, v1, v0 offset0:72 offset1:81
	v_sub_f16_e32 v0, v10, v12
	v_sub_f16_e32 v1, v8, v14
	v_sub_f16_e32 v10, v58, v57
	v_add_f16_e32 v5, v5, v61
	s_delay_alu instid0(VALU_DEP_3) | instskip(SKIP_1) | instid1(VALU_DEP_4)
	v_add_f16_e32 v0, v0, v1
	v_add_f16_e32 v1, v50, v12
	;; [unrolled: 1-line block ×3, first 2 shown]
	v_fmamk_f16 v10, v102, 0xbb9c, v63
	v_fmac_f16_e32 v63, 0x3b9c, v102
	s_delay_alu instid0(VALU_DEP_4) | instskip(NEXT) | instid1(VALU_DEP_3)
	v_add_f16_e32 v1, v1, v14
	v_fmac_f16_e32 v10, 0xb8b4, v96
	s_delay_alu instid0(VALU_DEP_3) | instskip(SKIP_1) | instid1(VALU_DEP_4)
	v_fmac_f16_e32 v63, 0x38b4, v96
	v_lshrrev_b16 v96, 14, v21
	v_add_f16_e32 v1, v1, v8
	v_sub_f16_e32 v8, v61, v59
	v_fmac_f16_e32 v10, 0x34f2, v9
	v_fmac_f16_e32 v63, 0x34f2, v9
	v_mul_lo_u16 v21, 0x5a, v96
	v_add_f16_e32 v14, v1, v5
	v_add_f16_e32 v7, v7, v8
	;; [unrolled: 1-line block ×3, first 2 shown]
	v_mul_f16_e32 v12, 0x38b4, v10
	v_sub_f16_e32 v1, v1, v5
	v_sub_nc_u16 v20, v20, v21
	v_fmac_f16_e32 v11, 0x34f2, v7
	v_add_f16_e32 v8, v8, v57
	v_fmac_f16_e32 v49, 0x34f2, v7
	s_delay_alu instid0(VALU_DEP_4) | instskip(NEXT) | instid1(VALU_DEP_4)
	v_and_b32_e32 v100, 0xff, v20
	v_fmac_f16_e32 v12, 0x3a79, v11
	s_delay_alu instid0(VALU_DEP_4) | instskip(SKIP_1) | instid1(VALU_DEP_2)
	v_add_f16_e32 v8, v8, v58
	v_mul_f16_e32 v11, 0xb8b4, v11
	v_add_f16_e32 v15, v13, v8
	s_delay_alu instid0(VALU_DEP_2)
	v_fmac_f16_e32 v11, 0x3a79, v10
	v_mad_u16 v10, 0x5a, v19, v22
	v_fmamk_f16 v19, v94, 0x3b9c, v40
	v_fmac_f16_e32 v40, 0xbb9c, v94
	v_pack_b32_f16 v14, v14, v15
	v_add_f16_e32 v15, v33, v34
	v_and_b32_e32 v10, 0xffff, v10
	v_fmac_f16_e32 v19, 0x38b4, v91
	v_fmac_f16_e32 v40, 0xb8b4, v91
	s_delay_alu instid0(VALU_DEP_4) | instskip(NEXT) | instid1(VALU_DEP_4)
	v_fma_f16 v15, -0.5, v15, v41
	v_lshlrev_b32_e32 v215, 2, v10
	s_delay_alu instid0(VALU_DEP_4)
	v_fmac_f16_e32 v19, 0x34f2, v0
	v_add_f16_e32 v10, v23, v35
	v_fmac_f16_e32 v40, 0x34f2, v0
	v_fmamk_f16 v22, v2, 0xbb9c, v15
	v_fmac_f16_e32 v15, 0x3b9c, v2
	v_add_f16_e32 v50, v19, v12
	v_fmac_f16_e32 v41, -0.5, v10
	v_sub_f16_e32 v10, v33, v23
	v_fmac_f16_e32 v22, 0xb8b4, v3
	v_fmac_f16_e32 v15, 0x38b4, v3
	v_mul_f16_e32 v0, 0xba79, v49
	v_mul_f16_e32 v23, 0xbb9c, v103
	;; [unrolled: 1-line block ×3, first 2 shown]
	v_fmac_f16_e32 v22, 0x34f2, v4
	v_fmac_f16_e32 v15, 0x34f2, v4
	;; [unrolled: 1-line block ×5, first 2 shown]
	v_add_f16_e32 v51, v22, v11
	s_delay_alu instid0(VALU_DEP_4) | instskip(SKIP_1) | instid1(VALU_DEP_3)
	v_add_f16_e32 v4, v40, v0
	v_sub_f16_e32 v0, v40, v0
	v_pack_b32_f16 v50, v50, v51
	ds_store_2addr_b32 v215, v14, v50 offset1:9
	v_sub_f16_e32 v14, v34, v35
	s_delay_alu instid0(VALU_DEP_1) | instskip(SKIP_3) | instid1(VALU_DEP_3)
	v_add_f16_e32 v10, v10, v14
	v_fmamk_f16 v14, v3, 0x3b9c, v41
	v_fmac_f16_e32 v41, 0xbb9c, v3
	v_sub_f16_e32 v3, v13, v8
	v_fmac_f16_e32 v14, 0xb8b4, v2
	s_delay_alu instid0(VALU_DEP_3) | instskip(SKIP_1) | instid1(VALU_DEP_4)
	v_fmac_f16_e32 v41, 0x38b4, v2
	v_mul_f16_e32 v2, 0xba79, v63
	v_pack_b32_f16 v1, v1, v3
	s_delay_alu instid0(VALU_DEP_4) | instskip(NEXT) | instid1(VALU_DEP_4)
	v_fmac_f16_e32 v14, 0x34f2, v10
	v_fmac_f16_e32 v41, 0x34f2, v10
	s_delay_alu instid0(VALU_DEP_4) | instskip(SKIP_1) | instid1(VALU_DEP_4)
	v_fmac_f16_e32 v2, 0xb8b4, v49
	v_mul_f16_e32 v10, 0x3b9c, v104
	v_add_f16_e32 v35, v14, v23
	s_delay_alu instid0(VALU_DEP_3) | instskip(NEXT) | instid1(VALU_DEP_3)
	v_add_f16_e32 v5, v15, v2
	v_fmac_f16_e32 v10, 0x34f2, v103
	v_sub_f16_e32 v2, v15, v2
	s_delay_alu instid0(VALU_DEP_3) | instskip(NEXT) | instid1(VALU_DEP_3)
	v_pack_b32_f16 v4, v4, v5
	v_sub_f16_e32 v3, v18, v10
	v_sub_f16_e32 v5, v14, v23
	s_delay_alu instid0(VALU_DEP_4)
	v_pack_b32_f16 v0, v0, v2
	v_add_f16_e32 v34, v18, v10
	ds_store_2addr_b32 v215, v4, v1 offset0:36 offset1:45
	v_sub_f16_e32 v1, v19, v12
	v_sub_f16_e32 v4, v22, v11
	v_pack_b32_f16 v3, v3, v5
	v_pack_b32_f16 v34, v34, v35
	v_add_f16_e32 v35, v41, v33
	s_delay_alu instid0(VALU_DEP_4) | instskip(NEXT) | instid1(VALU_DEP_2)
	v_pack_b32_f16 v1, v1, v4
	v_pack_b32_f16 v35, v110, v35
	ds_store_2addr_b32 v215, v1, v3 offset0:54 offset1:63
	v_sub_f16_e32 v1, v41, v33
	ds_store_2addr_b32 v215, v34, v35 offset0:18 offset1:27
	v_pack_b32_f16 v1, v109, v1
	ds_store_2addr_b32 v215, v1, v0 offset0:72 offset1:81
	v_mul_u32_u24_e32 v0, 0x2d83, v17
	s_waitcnt lgkmcnt(0)
	s_barrier
	buffer_gl0_inv
	v_lshrrev_b32_e32 v12, 20, v0
	s_delay_alu instid0(VALU_DEP_1) | instskip(NEXT) | instid1(VALU_DEP_1)
	v_mul_lo_u16 v0, 0x5a, v12
	v_sub_nc_u16 v13, v16, v0
	v_add_nc_u32_e32 v0, 0xffffffa6, v153
	s_delay_alu instid0(VALU_DEP_1) | instskip(NEXT) | instid1(VALU_DEP_1)
	v_cndmask_b32_e32 v33, v0, v153, vcc_lo
	v_mul_i32_i24_e32 v0, 20, v33
	v_mul_hi_i32_i24_e32 v1, 20, v33
	s_delay_alu instid0(VALU_DEP_2) | instskip(SKIP_1) | instid1(VALU_DEP_3)
	v_add_co_u32 v16, vcc_lo, s6, v0
	v_mul_lo_u16 v0, v13, 20
	v_add_co_ci_u32_e32 v17, vcc_lo, s7, v1, vcc_lo
	v_cmp_lt_u16_e32 vcc_lo, 0x59, v28
	s_delay_alu instid0(VALU_DEP_3) | instskip(SKIP_1) | instid1(VALU_DEP_2)
	v_and_b32_e32 v0, 0xffff, v0
	v_cndmask_b32_e64 v28, 0, 0x21c, vcc_lo
	v_add_co_u32 v8, s2, s6, v0
	s_delay_alu instid0(VALU_DEP_1)
	v_add_co_ci_u32_e64 v9, null, s7, 0, s2
	s_clause 0x1
	global_load_b32 v183, v[8:9], off offset:364
	global_load_b128 v[244:247], v[8:9], off offset:348
	ds_load_2addr_b32 v[22:23], v133 offset0:104 offset1:212
	ds_load_2addr_b32 v[34:35], v228 offset0:32 offset1:140
	;; [unrolled: 1-line block ×6, first 2 shown]
	s_clause 0x1
	global_load_b32 v141, v[16:17], off offset:364
	global_load_b128 v[169:172], v[16:17], off offset:348
	v_add_lshl_u32 v225, v33, v28, 2
	s_delay_alu instid0(VALU_DEP_1)
	v_add_nc_u32_e32 v6, 0x200, v225
	s_waitcnt lgkmcnt(5)
	v_lshrrev_b32_e32 v0, 16, v22
	s_waitcnt lgkmcnt(3)
	v_lshrrev_b32_e32 v42, 16, v56
	v_lshrrev_b32_e32 v8, 16, v57
	s_waitcnt vmcnt(3)
	v_lshrrev_b32_e32 v4, 16, v183
	s_waitcnt vmcnt(2)
	v_lshrrev_b32_e32 v1, 16, v245
	v_lshrrev_b32_e32 v2, 16, v247
	;; [unrolled: 1-line block ×4, first 2 shown]
	s_waitcnt lgkmcnt(1)
	v_mul_f16_e32 v3, v61, v4
	v_mul_f16_e32 v14, v22, v1
	;; [unrolled: 1-line block ×3, first 2 shown]
	s_waitcnt vmcnt(0)
	v_lshrrev_b32_e32 v142, 16, v169
	s_waitcnt lgkmcnt(0)
	v_mul_f16_e64 v49, v63, v182
	v_lshrrev_b32_e32 v127, 16, v171
	v_fmac_f16_e64 v14, v0, v245
	v_mul_f16_e32 v0, v0, v1
	v_lshrrev_b32_e32 v1, 16, v34
	v_mul_f16_e64 v11, v57, v142
	v_mul_f16_e64 v9, v8, v142
	v_lshrrev_b32_e32 v152, 16, v141
	v_fma_f16 v15, v22, v245, -v0
	v_fmac_f16_e64 v40, v1, v247
	v_mul_f16_e32 v1, v1, v2
	v_lshrrev_b32_e32 v2, 16, v61
	v_fmac_f16_e64 v11, v8, v169
	v_add_f16_e32 v48, v56, v15
	v_lshrrev_b32_e32 v8, 16, v23
	v_fma_f16 v41, v34, v247, -v1
	v_mul_f16_e64 v1, v59, v187
	v_fmac_f16_e64 v3, v2, v183
	v_mul_f16_e32 v2, v2, v4
	v_lshrrev_b32_e32 v4, 16, v63
	v_add_f16_e32 v0, v15, v41
	v_mul_f16_e32 v22, v8, v127
	v_mul_f16_e64 v94, v35, v152
	v_fma_f16 v2, v61, v183, -v2
	v_fmac_f16_e64 v49, v4, v244
	v_fmac_f16_e32 v56, -0.5, v0
	v_sub_f16_e32 v0, v14, v40
	v_mul_f16_e64 v4, v4, v182
	v_fma_f16 v51, v23, v171, -v22
	v_lshrrev_b32_e32 v223, 16, v170
	v_fma_f16 v9, v57, v169, -v9
	v_fmamk_f16 v43, v0, 0x3aee, v56
	v_fmac_f16_e32 v56, 0xbaee, v0
	v_lshrrev_b32_e32 v0, 16, v59
	v_fma_f16 v50, v63, v244, -v4
	v_lshrrev_b32_e32 v242, 16, v172
	s_delay_alu instid0(VALU_DEP_3) | instskip(SKIP_1) | instid1(VALU_DEP_1)
	v_fmac_f16_e64 v1, v0, v246
	v_mul_f16_e64 v0, v0, v187
	v_fma_f16 v0, v59, v246, -v0
	v_mul_f16_e32 v59, v23, v127
	s_delay_alu instid0(VALU_DEP_2) | instskip(SKIP_2) | instid1(VALU_DEP_4)
	v_add_f16_e32 v4, v0, v2
	v_add_f16_e32 v5, v50, v0
	v_sub_f16_e32 v0, v0, v2
	v_fmac_f16_e64 v59, v8, v171
	v_mul_u32_u24_e32 v8, 0x2d83, v32
	v_fmac_f16_e32 v50, -0.5, v4
	v_sub_f16_e32 v4, v1, v3
	v_add_f16_e32 v2, v5, v2
	s_delay_alu instid0(VALU_DEP_4) | instskip(NEXT) | instid1(VALU_DEP_3)
	v_lshrrev_b32_e32 v8, 20, v8
	v_fmamk_f16 v7, v4, 0x3aee, v50
	v_fmac_f16_e32 v50, 0xbaee, v4
	v_add_f16_e32 v4, v1, v3
	v_add_f16_e32 v1, v49, v1
	v_mul_lo_u16 v32, 0x5a, v8
	v_mul_f16_e32 v5, 0xbaee, v7
	s_delay_alu instid0(VALU_DEP_4) | instskip(NEXT) | instid1(VALU_DEP_4)
	v_fmac_f16_e32 v49, -0.5, v4
	v_add_f16_e32 v1, v1, v3
	s_delay_alu instid0(VALU_DEP_4) | instskip(SKIP_1) | instid1(VALU_DEP_4)
	v_sub_nc_u16 v117, v29, v32
	v_mul_u32_u24_e32 v29, 0x2d83, v31
	v_fmamk_f16 v4, v0, 0xbaee, v49
	v_fmac_f16_e32 v49, 0x3aee, v0
	v_mul_f16_e32 v0, -0.5, v50
	s_delay_alu instid0(VALU_DEP_4)
	v_lshrrev_b32_e32 v129, 20, v29
	v_mad_u16 v8, 0x21c, v8, v117
	v_mul_f16_e32 v3, 0x3aee, v4
	v_fmac_f16_e32 v5, 0.5, v4
	v_fmac_f16_e32 v0, 0x3aee, v49
	v_mul_lo_u16 v29, 0x5a, v129
	v_and_b32_e32 v8, 0xffff, v8
	v_fmac_f16_e32 v3, 0.5, v7
	v_mad_u16 v4, 0x21c, v12, v13
	v_add_f16_e32 v10, v56, v0
	v_sub_f16_e32 v0, v56, v0
	v_lshrrev_b32_e32 v56, 16, v35
	v_sub_nc_u16 v132, v30, v29
	v_and_b32_e32 v4, 0xffff, v4
	v_add_f16_e32 v13, v43, v3
	s_delay_alu instid0(VALU_DEP_4) | instskip(SKIP_1) | instid1(VALU_DEP_4)
	v_mul_f16_e64 v22, v56, v152
	v_fmac_f16_e64 v94, v56, v141
	v_lshlrev_b32_e32 v33, 2, v4
	v_mul_f16_e32 v4, -0.5, v49
	s_delay_alu instid0(VALU_DEP_4)
	v_fma_f16 v61, v35, v141, -v22
	ds_load_2addr_b32 v[34:35], v162 offset0:56 offset1:164
	v_fmac_f16_e32 v4, 0xbaee, v50
	s_waitcnt lgkmcnt(0)
	v_lshrrev_b32_e32 v21, 16, v34
	v_mul_f16_e64 v99, v34, v223
	v_lshrrev_b32_e32 v57, 16, v35
	s_delay_alu instid0(VALU_DEP_2) | instskip(SKIP_1) | instid1(VALU_DEP_1)
	v_fmac_f16_e64 v99, v21, v170
	v_mul_f16_e64 v21, v21, v223
	v_fma_f16 v101, v34, v170, -v21
	v_mad_u64_u32 v[20:21], null, v100, 20, s[6:7]
	s_clause 0x1
	global_load_b32 v220, v[20:21], off offset:364
	global_load_b128 v[165:168], v[20:21], off offset:348
	ds_load_2addr_b32 v[29:30], v154 offset1:108
	s_waitcnt lgkmcnt(0)
	v_lshrrev_b32_e32 v116, 16, v30
	v_lshrrev_b32_e32 v175, 16, v29
	s_waitcnt vmcnt(1)
	v_lshrrev_b32_e32 v229, 16, v220
	s_waitcnt vmcnt(0)
	v_lshrrev_b32_e32 v128, 16, v166
	v_lshrrev_b32_e32 v131, 16, v168
	;; [unrolled: 1-line block ×4, first 2 shown]
	s_delay_alu instid0(VALU_DEP_4) | instskip(SKIP_1) | instid1(VALU_DEP_2)
	v_mul_f16_e64 v34, v57, v128
	v_mul_f16_e64 v103, v35, v128
	v_fma_f16 v102, v35, v166, -v34
	ds_load_2addr_b32 v[34:35], v161 offset0:112 offset1:220
	v_fmac_f16_e64 v103, v57, v166
	ds_load_2addr_b32 v[56:57], v88 offset0:64 offset1:172
	v_add_f16_e32 v120, v30, v102
	s_waitcnt lgkmcnt(1)
	v_lshrrev_b32_e32 v63, 16, v34
	v_mul_f16_e64 v114, v35, v131
	s_waitcnt lgkmcnt(0)
	v_mul_f16_e64 v32, v56, v205
	s_delay_alu instid0(VALU_DEP_3) | instskip(NEXT) | instid1(VALU_DEP_1)
	v_mul_f16_e64 v64, v63, v242
	v_fma_f16 v104, v34, v172, -v64
	v_lshrrev_b32_e32 v64, 16, v35
	v_mul_f16_e64 v34, v34, v242
	s_delay_alu instid0(VALU_DEP_2) | instskip(NEXT) | instid1(VALU_DEP_2)
	v_mul_f16_e64 v91, v64, v131
	v_fmac_f16_e64 v34, v63, v172
	v_fmac_f16_e64 v114, v64, v168
	ds_load_2addr_b32 v[63:64], v107 offset0:120 offset1:228
	v_fma_f16 v113, v35, v168, -v91
	ds_load_2addr_b32 v[91:92], v126 offset0:136 offset1:244
	v_add_f16_e32 v31, v102, v113
	s_delay_alu instid0(VALU_DEP_1) | instskip(SKIP_1) | instid1(VALU_DEP_1)
	v_fmac_f16_e32 v30, -0.5, v31
	v_sub_f16_e32 v31, v103, v114
	v_fmamk_f16 v121, v31, 0x3aee, v30
	v_fmac_f16_e32 v30, 0xbaee, v31
	v_lshrrev_b32_e32 v31, 16, v56
	s_waitcnt lgkmcnt(1)
	v_lshrrev_b32_e32 v35, 16, v63
	v_mul_f16_e64 v137, v63, v229
	s_waitcnt lgkmcnt(0)
	v_lshrrev_b32_e32 v105, 16, v91
	v_mul_f16_e64 v147, v91, v248
	v_fmac_f16_e64 v32, v31, v167
	v_mul_f16_e64 v31, v31, v205
	v_fmac_f16_e64 v137, v35, v220
	v_mul_f16_e64 v35, v35, v229
	v_fmac_f16_e64 v147, v105, v165
	v_mul_f16_e64 v105, v105, v248
	v_fma_f16 v31, v56, v167, -v31
	s_delay_alu instid0(VALU_DEP_4) | instskip(NEXT) | instid1(VALU_DEP_4)
	v_fma_f16 v56, v63, v220, -v35
	v_add_f16_e64 v151, v147, v32
	s_delay_alu instid0(VALU_DEP_4) | instskip(NEXT) | instid1(VALU_DEP_3)
	v_fma_f16 v63, v91, v165, -v105
	v_add_f16_e32 v35, v31, v56
	s_delay_alu instid0(VALU_DEP_2) | instskip(SKIP_1) | instid1(VALU_DEP_3)
	v_add_f16_e32 v91, v63, v31
	v_sub_f16_e32 v31, v31, v56
	v_fmac_f16_e32 v63, -0.5, v35
	v_sub_f16_e64 v35, v32, v137
	s_delay_alu instid0(VALU_DEP_4) | instskip(NEXT) | instid1(VALU_DEP_2)
	v_add_f16_e32 v56, v91, v56
	v_fma_f16 v148, 0x3aee, v35, v63
	v_fmac_f16_e32 v63, 0xbaee, v35
	v_add_f16_e64 v35, v32, v137
	v_add_f16_e32 v32, v101, v104
	s_delay_alu instid0(VALU_DEP_4) | instskip(NEXT) | instid1(VALU_DEP_3)
	v_mul_f16_e64 v91, 0xbaee, v148
	v_fmac_f16_e64 v147, -0.5, v35
	s_delay_alu instid0(VALU_DEP_3) | instskip(SKIP_2) | instid1(VALU_DEP_4)
	v_fma_f16 v156, -0.5, v32, v29
	v_add_f16_e32 v29, v29, v101
	v_sub_f16_e32 v101, v101, v104
	v_fma_f16 v155, 0xbaee, v31, v147
	v_fmac_f16_e64 v147, 0x3aee, v31
	v_mul_f16_e32 v31, -0.5, v63
	v_add_f16_e64 v178, v29, v104
	v_add_f16_e32 v29, v59, v94
	v_fmac_f16_e64 v91, 0.5, v155
	s_delay_alu instid0(VALU_DEP_4) | instskip(NEXT) | instid1(VALU_DEP_1)
	v_fmac_f16_e64 v31, 0x3aee, v147
	v_add_f16_e64 v173, v30, v31
	v_sub_f16_e64 v174, v30, v31
	v_add_f16_e32 v31, v99, v34
	v_add_f16_e64 v30, v175, v99
	v_sub_f16_e32 v99, v99, v34
	s_delay_alu instid0(VALU_DEP_3) | instskip(SKIP_1) | instid1(VALU_DEP_4)
	v_fmac_f16_e64 v175, -0.5, v31
	v_add_f16_e32 v31, v51, v61
	v_add_f16_e64 v176, v30, v34
	v_add_f16_e32 v30, v11, v59
	v_fmac_f16_e32 v11, -0.5, v29
	v_add_f16_e32 v29, v9, v51
	v_sub_f16_e32 v51, v51, v61
	v_fmac_f16_e32 v9, -0.5, v31
	v_sub_f16_e32 v59, v59, v94
	v_add_f16_e32 v94, v30, v94
	v_add_f16_e32 v61, v29, v61
	v_fmamk_f16 v29, v51, 0xbaee, v11
	v_fma_f16 v181, 0x3aee, v99, v156
	v_fmamk_f16 v30, v59, 0x3aee, v9
	v_fma_f16 v186, 0xbaee, v101, v175
	v_add_f16_e64 v28, v178, v61
	v_mul_f16_e32 v104, 0x3aee, v29
	v_fmac_f16_e32 v9, 0xbaee, v59
	v_mul_f16_e64 v179, 0xbaee, v30
	v_fmac_f16_e32 v11, 0x3aee, v51
	v_fmac_f16_e64 v156, 0xbaee, v99
	v_fmac_f16_e32 v104, 0.5, v30
	v_mul_f16_e32 v51, -0.5, v9
	v_fmac_f16_e64 v179, 0.5, v29
	v_add_f16_e64 v29, v176, v94
	v_fmac_f16_e64 v175, 0x3aee, v101
	v_sub_f16_e64 v59, v176, v94
	v_fmac_f16_e32 v51, 0x3aee, v11
	v_mul_f16_e32 v11, -0.5, v11
	v_pack_b32_f16 v180, v28, v29
	v_add_f16_e64 v28, v181, v104
	v_add_f16_e64 v29, v186, v179
	s_delay_alu instid0(VALU_DEP_4) | instskip(SKIP_2) | instid1(VALU_DEP_4)
	v_fmac_f16_e32 v11, 0xbaee, v9
	v_sub_f16_e64 v9, v178, v61
	v_add_f16_e64 v61, v156, v51
	v_pack_b32_f16 v188, v28, v29
	v_mul_lo_u16 v28, v132, 20
	v_mul_lo_u16 v29, v117, 20
	v_add_f16_e64 v94, v175, v11
	v_pack_b32_f16 v9, v9, v59
	v_sub_f16_e64 v51, v156, v51
	v_and_b32_e32 v28, 0xffff, v28
	v_and_b32_e32 v30, 0xffff, v29
	v_pack_b32_f16 v61, v61, v94
	v_sub_f16_e64 v59, v186, v179
	v_sub_f16_e64 v11, v175, v11
	v_add_co_u32 v28, s2, s6, v28
	s_delay_alu instid0(VALU_DEP_1) | instskip(SKIP_1) | instid1(VALU_DEP_1)
	v_add_co_ci_u32_e64 v29, null, s7, 0, s2
	v_add_co_u32 v30, s2, s6, v30
	v_add_co_ci_u32_e64 v31, null, s7, 0, s2
	s_clause 0x3
	global_load_b32 v224, v[28:29], off offset:364
	global_load_b32 v233, v[30:31], off offset:364
	global_load_b128 v[122:125], v[30:31], off offset:348
	global_load_b128 v[157:160], v[28:29], off offset:348
	ds_load_2addr_b32 v[109:110], v240 offset0:88 offset1:196
	ds_load_2addr_b32 v[105:106], v138 offset0:16 offset1:124
	;; [unrolled: 1-line block ×3, first 2 shown]
	s_waitcnt vmcnt(0) lgkmcnt(0)
	s_barrier
	buffer_gl0_inv
	ds_store_2addr_b32 v6, v61, v9 offset0:52 offset1:142
	v_sub_f16_e64 v9, v181, v104
	scratch_store_b32 off, v6, off offset:348 ; 4-byte Folded Spill
	v_pack_b32_f16 v11, v51, v11
	v_add_nc_u32_e32 v6, 0x400, v225
	v_and_b32_e32 v94, 0xffff, v96
	v_pack_b32_f16 v9, v9, v59
	v_add_f16_e64 v59, v151, v137
	v_sub_f16_e32 v51, v102, v113
	v_mul_f16_e64 v61, 0x3aee, v155
	v_mul_u32_u24_e32 v94, 0x21c, v94
	ds_store_2addr_b32 v6, v9, v11 offset0:104 offset1:194
	v_add_f16_e32 v9, v116, v103
	v_add_f16_e32 v11, v103, v114
	scratch_store_b32 off, v6, off offset:352 ; 4-byte Folded Spill
	v_add_lshl_u32 v250, v94, v100, 2
	v_fmac_f16_e64 v61, 0.5, v148
	v_add_f16_e32 v9, v9, v114
	v_fmac_f16_e32 v116, -0.5, v11
	v_add_f16_e32 v11, v120, v113
	v_add_nc_u32_e32 v6, 0x200, v250
	ds_store_2addr_b32 v225, v180, v188 offset1:90
	v_add_f16_e32 v96, v9, v59
	v_sub_f16_e32 v9, v9, v59
	v_add_f16_e32 v94, v11, v56
	v_sub_f16_e32 v11, v11, v56
	v_add_f16_e32 v99, v121, v61
	scratch_store_b32 off, v6, off offset:336 ; 4-byte Folded Spill
	v_lshrrev_b32_e32 v101, 16, v135
	v_pack_b32_f16 v94, v94, v96
	v_fmamk_f16 v96, v51, 0xbaee, v116
	v_fmac_f16_e32 v116, 0x3aee, v51
	v_mul_f16_e64 v51, -0.5, v147
	v_pack_b32_f16 v9, v11, v9
	v_lshrrev_b32_e32 v113, 16, v136
	v_sub_f16_e32 v11, v96, v91
	v_add_f16_e32 v100, v96, v91
	v_fmac_f16_e32 v51, 0xbaee, v63
	v_lshrrev_b32_e32 v137, 16, v60
	s_delay_alu instid0(VALU_DEP_3) | instskip(NEXT) | instid1(VALU_DEP_3)
	v_pack_b32_f16 v99, v99, v100
	v_add_f16_e32 v56, v116, v51
	v_sub_f16_e32 v51, v116, v51
	ds_store_2addr_b32 v250, v94, v99 offset1:90
	v_pack_b32_f16 v56, v173, v56
	v_lshrrev_b32_e32 v99, 16, v58
	ds_store_2addr_b32 v6, v56, v9 offset0:52 offset1:142
	v_sub_f16_e32 v9, v121, v61
	v_add_nc_u32_e32 v6, 0x400, v250
	v_lshrrev_b32_e32 v56, 16, v57
	v_lshrrev_b32_e32 v61, 16, v64
	s_delay_alu instid0(VALU_DEP_4)
	v_pack_b32_f16 v9, v9, v11
	v_pack_b32_f16 v11, v174, v51
	scratch_store_b32 off, v6, off offset:340 ; 4-byte Folded Spill
	ds_store_2addr_b32 v6, v9, v11 offset0:104 offset1:194
	v_lshrrev_b32_e32 v9, 16, v92
	v_lshrrev_b32_e32 v35, 16, v224
	;; [unrolled: 1-line block ×7, first 2 shown]
	v_mul_f16_e64 v63, v61, v251
	v_mul_f16_e32 v51, v92, v121
	v_mul_f16_e32 v59, v56, v120
	;; [unrolled: 1-line block ×3, first 2 shown]
	v_mul_f16_e64 v91, v105, v176
	v_fma_f16 v63, v64, v233, -v63
	v_fmac_f16_e32 v51, v9, v122
	v_fma_f16 v59, v57, v124, -v59
	v_mul_f16_e32 v57, v57, v120
	v_lshrrev_b32_e32 v9, 16, v62
	v_mul_f16_e64 v64, v64, v251
	v_fma_f16 v11, v92, v122, -v11
	v_lshrrev_b32_e32 v92, 16, v106
	v_fmac_f16_e32 v57, v56, v124
	v_mul_f16_e32 v56, v9, v102
	v_fmac_f16_e64 v64, v61, v233
	v_mul_f16_e32 v61, v62, v102
	v_lshrrev_b32_e32 v103, 16, v158
	v_lshrrev_b32_e32 v178, 16, v125
	v_fma_f16 v56, v62, v157, -v56
	v_lshrrev_b32_e32 v62, 16, v105
	v_lshrrev_b32_e32 v116, 16, v160
	v_mul_f16_e32 v94, v92, v103
	v_mul_f16_e32 v96, v106, v103
	v_mul_f16_e64 v147, v137, v35
	v_fmac_f16_e32 v91, v62, v123
	v_mul_f16_e64 v62, v62, v176
	v_fma_f16 v94, v106, v158, -v94
	v_lshrrev_b32_e32 v106, 16, v159
	v_mul_f16_e32 v114, v113, v116
	v_fmac_f16_e64 v61, v9, v157
	v_fma_f16 v62, v105, v123, -v62
	v_mul_f16_e64 v105, v135, v178
	v_mul_f16_e32 v100, v99, v106
	v_fmac_f16_e64 v96, v92, v158
	v_fma_f16 v147, v60, v224, -v147
	v_mul_f16_e32 v60, v60, v35
	v_fmac_f16_e32 v105, v101, v125
	v_mul_f16_e64 v101, v101, v178
	v_fma_f16 v100, v58, v159, -v100
	v_mul_f16_e32 v58, v58, v106
	v_lshrrev_b32_e32 v92, 16, v110
	v_fmac_f16_e64 v60, v137, v224
	v_fma_f16 v101, v135, v125, -v101
	v_fma_f16 v135, v136, v160, -v114
	v_mul_f16_e64 v136, v136, v116
	v_fmac_f16_e64 v58, v99, v159
	v_add_f16_e32 v99, v110, v94
	v_add_f16_e64 v137, v56, v100
	v_add_f16_e64 v9, v94, v135
	v_fmac_f16_e64 v136, v113, v160
	v_add_f16_e64 v151, v62, v101
	v_add_f16_e64 v173, v91, v105
	v_lshlrev_b32_e32 v114, 2, v8
	v_fmac_f16_e32 v110, -0.5, v9
	v_sub_f16_e64 v9, v96, v136
	v_fma_f16 v151, -0.5, v151, v109
	s_delay_alu instid0(VALU_DEP_4) | instskip(NEXT) | instid1(VALU_DEP_3)
	v_add_nc_u32_e32 v6, 0x200, v114
	v_fmamk_f16 v113, v9, 0x3aee, v110
	v_fmac_f16_e32 v110, 0xbaee, v9
	v_add_f16_e64 v9, v100, v147
	scratch_store_b32 off, v6, off offset:360 ; 4-byte Folded Spill
	v_fmac_f16_e32 v56, -0.5, v9
	v_sub_f16_e32 v9, v58, v60
	s_delay_alu instid0(VALU_DEP_1) | instskip(SKIP_3) | instid1(VALU_DEP_2)
	v_fma_f16 v148, 0x3aee, v9, v56
	v_fmac_f16_e32 v56, 0xbaee, v9
	v_add_f16_e32 v9, v58, v60
	v_add_f16_e32 v58, v61, v58
	v_fmac_f16_e32 v61, -0.5, v9
	v_sub_f16_e64 v9, v100, v147
	s_delay_alu instid0(VALU_DEP_3) | instskip(SKIP_1) | instid1(VALU_DEP_3)
	v_add_f16_e32 v58, v58, v60
	v_mul_f16_e64 v60, 0xbaee, v148
	v_fmamk_f16 v100, v9, 0xbaee, v61
	v_fmac_f16_e32 v61, 0x3aee, v9
	v_mul_f16_e32 v9, -0.5, v56
	s_delay_alu instid0(VALU_DEP_3) | instskip(NEXT) | instid1(VALU_DEP_2)
	v_fmac_f16_e32 v60, 0.5, v100
	v_fmac_f16_e32 v9, 0x3aee, v61
	s_delay_alu instid0(VALU_DEP_1) | instskip(SKIP_4) | instid1(VALU_DEP_3)
	v_add_f16_e64 v155, v110, v9
	v_sub_f16_e32 v9, v110, v9
	v_lshrrev_b32_e32 v110, 16, v109
	v_add_f16_e32 v109, v109, v62
	v_sub_f16_e32 v62, v62, v101
	v_add_f16_e64 v156, v110, v91
	v_fmac_f16_e64 v110, -0.5, v173
	s_delay_alu instid0(VALU_DEP_4)
	v_add_f16_e32 v109, v109, v101
	v_add_f16_e32 v101, v57, v64
	v_add_f16_e64 v173, v59, v63
	v_sub_f16_e32 v91, v91, v105
	v_add_f16_e64 v105, v156, v105
	v_add_f16_e64 v156, v51, v57
	v_fmac_f16_e32 v51, -0.5, v101
	v_add_f16_e32 v101, v11, v59
	v_fmac_f16_e64 v11, -0.5, v173
	v_sub_f16_e32 v57, v57, v64
	v_sub_f16_e32 v59, v59, v63
	v_fma_f16 v174, 0x3aee, v91, v151
	v_add_f16_e32 v63, v101, v63
	v_add_f16_e64 v101, v156, v64
	v_fma_f16 v156, 0x3aee, v57, v11
	v_fmac_f16_e32 v11, 0xbaee, v57
	v_fmamk_f16 v64, v59, 0xbaee, v51
	v_fmac_f16_e32 v51, 0x3aee, v59
	v_fma_f16 v175, 0xbaee, v62, v110
	v_fmac_f16_e64 v151, 0xbaee, v91
	v_mul_f16_e32 v8, -0.5, v11
	v_mul_f16_e64 v173, 0x3aee, v64
	v_fmac_f16_e32 v110, 0x3aee, v62
	v_sub_f16_e32 v57, v105, v101
	v_add_f16_e32 v117, v105, v101
	v_fmac_f16_e32 v8, 0x3aee, v51
	v_mul_f16_e32 v51, -0.5, v51
	v_fmac_f16_e64 v173, 0.5, v156
	v_mul_f16_e64 v156, 0xbaee, v156
	s_delay_alu instid0(VALU_DEP_4) | instskip(NEXT) | instid1(VALU_DEP_4)
	v_add_f16_e64 v59, v151, v8
	v_fmac_f16_e32 v51, 0xbaee, v11
	v_sub_f16_e32 v11, v109, v63
	s_delay_alu instid0(VALU_DEP_4)
	v_fmac_f16_e64 v156, 0.5, v64
	v_sub_f16_e64 v8, v151, v8
	v_add_f16_e32 v64, v109, v63
	v_add_f16_e32 v62, v110, v51
	v_pack_b32_f16 v11, v11, v57
	v_sub_f16_e64 v57, v175, v156
	v_sub_f16_e32 v51, v110, v51
	v_pack_b32_f16 v117, v64, v117
	v_pack_b32_f16 v59, v59, v62
	v_mad_u16 v62, 0x21c, v129, v132
	v_add_f16_e64 v64, v174, v173
	v_pack_b32_f16 v8, v8, v51
	v_sub_f16_e64 v51, v94, v135
	ds_store_2addr_b32 v6, v59, v11 offset0:52 offset1:142
	v_sub_f16_e64 v11, v174, v173
	v_add_nc_u32_e32 v6, 0x400, v114
	v_and_b32_e32 v62, 0xffff, v62
	v_add_f16_e64 v179, v175, v156
	v_mul_f16_e32 v59, 0x3aee, v100
	v_pack_b32_f16 v11, v11, v57
	scratch_store_b32 off, v6, off offset:364 ; 4-byte Folded Spill
	v_add_f16_e64 v57, v137, v147
	v_lshlrev_b32_e32 v255, 2, v62
	v_pack_b32_f16 v179, v64, v179
	ds_store_2addr_b32 v6, v11, v8 offset0:104 offset1:194
	v_add_f16_e32 v8, v92, v96
	v_add_f16_e64 v11, v96, v136
	v_fmac_f16_e64 v59, 0.5, v148
	v_add_nc_u32_e32 v6, 0x200, v255
	ds_store_2addr_b32 v114, v117, v179 offset1:90
	v_add_f16_e64 v8, v8, v136
	v_fmac_f16_e32 v92, -0.5, v11
	v_add_f16_e64 v11, v99, v135
	scratch_store_b32 off, v6, off offset:356 ; 4-byte Folded Spill
	v_add_f16_e32 v94, v113, v59
	v_add_f16_e32 v91, v8, v58
	v_sub_f16_e32 v8, v8, v58
	v_add_f16_e32 v63, v11, v57
	v_sub_f16_e32 v11, v11, v57
	s_delay_alu instid0(VALU_DEP_2) | instskip(SKIP_4) | instid1(VALU_DEP_4)
	v_pack_b32_f16 v63, v63, v91
	v_fmamk_f16 v91, v51, 0xbaee, v92
	v_fmac_f16_e32 v92, 0x3aee, v51
	v_mul_f16_e32 v51, -0.5, v61
	v_pack_b32_f16 v8, v11, v8
	v_sub_f16_e32 v11, v91, v60
	v_add_f16_e32 v96, v91, v60
	s_delay_alu instid0(VALU_DEP_4) | instskip(NEXT) | instid1(VALU_DEP_2)
	v_fmac_f16_e32 v51, 0xbaee, v56
	v_pack_b32_f16 v94, v94, v96
	s_delay_alu instid0(VALU_DEP_2)
	v_add_f16_e32 v56, v92, v51
	v_sub_f16_e32 v51, v92, v51
	ds_store_2addr_b32 v255, v63, v94 offset1:90
	v_pack_b32_f16 v56, v155, v56
	v_pack_b32_f16 v9, v9, v51
	ds_store_2addr_b32 v6, v56, v8 offset0:52 offset1:142
	v_sub_f16_e32 v8, v113, v59
	v_add_nc_u32_e32 v6, 0x400, v255
	s_delay_alu instid0(VALU_DEP_2)
	v_pack_b32_f16 v8, v8, v11
	v_sub_f16_e32 v11, v15, v41
	scratch_store_b32 off, v6, off offset:344 ; 4-byte Folded Spill
	ds_store_2addr_b32 v6, v8, v9 offset0:104 offset1:194
	v_add_f16_e32 v8, v42, v14
	v_add_f16_e32 v9, v14, v40
	s_delay_alu instid0(VALU_DEP_2) | instskip(NEXT) | instid1(VALU_DEP_2)
	v_add_f16_e32 v8, v8, v40
	v_fmac_f16_e32 v42, -0.5, v9
	v_add_f16_e32 v9, v48, v41
	v_mad_u64_u32 v[40:41], null, v153, 20, s[6:7]
	s_delay_alu instid0(VALU_DEP_4) | instskip(SKIP_1) | instid1(VALU_DEP_4)
	v_add_f16_e32 v12, v8, v1
	v_sub_f16_e32 v1, v8, v1
	v_add_f16_e32 v7, v9, v2
	v_sub_f16_e32 v2, v9, v2
	s_mul_hi_u32 s7, s8, 0x10e0
	s_delay_alu instid0(VALU_DEP_2) | instskip(SKIP_4) | instid1(VALU_DEP_4)
	v_pack_b32_f16 v7, v7, v12
	v_fmamk_f16 v12, v11, 0xbaee, v42
	v_fmac_f16_e32 v42, 0x3aee, v11
	v_pack_b32_f16 v1, v2, v1
	v_add_nc_u32_e32 v2, 0x200, v33
	v_add_f16_e32 v14, v12, v5
	scratch_store_b32 off, v2, off offset:328 ; 4-byte Folded Spill
	v_pack_b32_f16 v13, v13, v14
	ds_store_2addr_b32 v33, v7, v13 offset1:90
	v_add_f16_e32 v7, v42, v4
	s_delay_alu instid0(VALU_DEP_1)
	v_pack_b32_f16 v7, v10, v7
	ds_store_2addr_b32 v2, v7, v1 offset0:52 offset1:142
	v_sub_f16_e32 v1, v43, v3
	v_sub_f16_e32 v2, v12, v5
	;; [unrolled: 1-line block ×3, first 2 shown]
	v_add_co_u32 v12, vcc_lo, 0x21c0, v40
	v_add_co_ci_u32_e32 v13, vcc_lo, 0, v41, vcc_lo
	s_delay_alu instid0(VALU_DEP_4) | instskip(NEXT) | instid1(VALU_DEP_4)
	v_pack_b32_f16 v1, v1, v2
	v_pack_b32_f16 v0, v0, v3
	v_add_nc_u32_e32 v2, 0x400, v33
	v_add_co_u32 v60, vcc_lo, 0x870, v40
	v_add_co_ci_u32_e32 v61, vcc_lo, 0, v41, vcc_lo
	scratch_store_b32 off, v2, off offset:332 ; 4-byte Folded Spill
	ds_store_2addr_b32 v2, v1, v0 offset0:104 offset1:194
	s_waitcnt lgkmcnt(0)
	s_waitcnt_vscnt null, 0x0
	s_barrier
	buffer_gl0_inv
	s_clause 0x1
	global_load_b32 v174, v[12:13], off offset:2164
	global_load_b128 v[89:92], v[12:13], off offset:2148
	ds_load_2addr_b32 v[42:43], v133 offset0:104 offset1:212
	ds_load_2addr_b32 v[56:57], v228 offset0:32 offset1:140
	;; [unrolled: 1-line block ×6, first 2 shown]
	s_clause 0x1
	global_load_b32 v186, v[40:41], off offset:2164
	global_load_b128 v[48:51], v[40:41], off offset:2148
	v_add_co_u32 v62, vcc_lo, 0x10e0, v40
	v_add_co_ci_u32_e32 v63, vcc_lo, 0, v41, vcc_lo
	v_add_co_u32 v64, vcc_lo, 0x1950, v40
	v_add_co_ci_u32_e32 v65, vcc_lo, 0, v41, vcc_lo
	s_waitcnt lgkmcnt(5)
	v_lshrrev_b32_e32 v0, 16, v42
	s_waitcnt lgkmcnt(4)
	v_lshrrev_b32_e32 v1, 16, v56
	;; [unrolled: 2-line block ×3, first 2 shown]
	v_lshrrev_b32_e32 v5, 16, v57
	s_waitcnt lgkmcnt(1)
	v_lshrrev_b32_e32 v2, 16, v100
	s_waitcnt lgkmcnt(0)
	v_lshrrev_b32_e32 v17, 16, v136
	v_lshrrev_b32_e32 v13, 16, v180
	s_waitcnt vmcnt(3)
	v_lshrrev_b32_e32 v3, 16, v174
	s_waitcnt vmcnt(2)
	v_lshrrev_b32_e32 v239, 16, v90
	v_lshrrev_b32_e32 v236, 16, v92
	;; [unrolled: 1-line block ×4, first 2 shown]
	v_mul_f16_e32 v24, v100, v3
	v_mul_f16_e64 v189, v42, v239
	v_mul_f16_e64 v195, v56, v236
	s_waitcnt vmcnt(1)
	v_lshrrev_b32_e32 v6, 16, v186
	v_mul_f16_e64 v15, v137, v156
	v_fmac_f16_e64 v24, v2, v174
	v_fmac_f16_e64 v189, v0, v90
	v_mul_f16_e64 v0, v0, v239
	v_fmac_f16_e64 v195, v1, v92
	v_mul_f16_e64 v1, v1, v236
	v_mul_f16_e32 v2, v2, v3
	v_lshrrev_b32_e32 v3, 16, v137
	v_fma_f16 v193, v42, v90, -v0
	v_mul_f16_e32 v40, v5, v6
	v_fma_f16 v194, v56, v92, -v1
	v_mul_f16_e64 v1, v181, v155
	v_fmac_f16_e32 v15, v3, v89
	v_add_f16_e64 v77, v58, v193
	v_mul_f16_e64 v3, v3, v156
	v_add_f16_e64 v0, v193, v194
	v_fma_f16 v117, v100, v174, -v2
	v_fma_f16 v100, v57, v186, -v40
	v_mul_f16_e64 v129, v57, v6
	v_fma_f16 v132, v137, v89, -v3
	v_fmac_f16_e32 v58, -0.5, v0
	v_sub_f16_e64 v0, v189, v195
	ds_load_2addr_b32 v[56:57], v162 offset0:56 offset1:164
	s_waitcnt vmcnt(0)
	v_lshrrev_b32_e32 v96, 16, v48
	v_lshrrev_b32_e32 v109, 16, v49
	;; [unrolled: 1-line block ×3, first 2 shown]
	v_fma_f16 v197, 0x3aee, v0, v58
	v_fmac_f16_e32 v58, 0xbaee, v0
	v_lshrrev_b32_e32 v0, 16, v181
	v_lshrrev_b32_e32 v110, 16, v51
	v_mul_f16_e32 v4, v43, v101
	v_fmac_f16_e64 v129, v5, v186
	s_delay_alu instid0(VALU_DEP_4) | instskip(SKIP_1) | instid1(VALU_DEP_2)
	v_fmac_f16_e32 v1, v0, v91
	v_mul_f16_e64 v0, v0, v155
	v_add_f16_e64 v151, v15, v1
	s_delay_alu instid0(VALU_DEP_2) | instskip(SKIP_3) | instid1(VALU_DEP_3)
	v_fma_f16 v0, v181, v91, -v0
	s_waitcnt lgkmcnt(0)
	v_lshrrev_b32_e32 v40, 16, v56
	v_mul_f16_e64 v135, v56, v109
	v_add_f16_e32 v2, v0, v117
	v_add_f16_e64 v147, v132, v0
	v_sub_f16_e32 v0, v0, v117
	s_delay_alu instid0(VALU_DEP_4) | instskip(NEXT) | instid1(VALU_DEP_4)
	v_fmac_f16_e64 v135, v40, v49
	v_fmac_f16_e64 v132, -0.5, v2
	v_sub_f16_e32 v2, v1, v24
	v_mul_f16_e32 v40, v40, v109
	s_delay_alu instid0(VALU_DEP_2) | instskip(SKIP_4) | instid1(VALU_DEP_3)
	v_fma_f16 v148, 0x3aee, v2, v132
	v_fmac_f16_e64 v132, 0xbaee, v2
	v_add_f16_e32 v2, v1, v24
	v_lshrrev_b32_e32 v1, 16, v59
	v_fma_f16 v137, v56, v49, -v40
	v_fmac_f16_e32 v15, -0.5, v2
	s_delay_alu instid0(VALU_DEP_3) | instskip(NEXT) | instid1(VALU_DEP_2)
	v_mul_f16_e32 v2, v1, v96
	v_fma_f16 v190, 0xbaee, v0, v15
	v_fmac_f16_e32 v15, 0x3aee, v0
	v_mul_f16_e64 v0, -0.5, v132
	s_delay_alu instid0(VALU_DEP_4) | instskip(NEXT) | instid1(VALU_DEP_2)
	v_fma_f16 v2, v59, v48, -v2
	v_fmac_f16_e32 v0, 0x3aee, v15
	s_delay_alu instid0(VALU_DEP_1) | instskip(SKIP_3) | instid1(VALU_DEP_2)
	v_add_f16_e64 v200, v58, v0
	v_sub_f16_e64 v218, v58, v0
	v_mul_f16_e32 v0, v59, v96
	v_lshrrev_b32_e32 v58, 16, v57
	v_fmac_f16_e32 v0, v1, v48
	v_lshrrev_b32_e32 v1, 16, v43
	s_delay_alu instid0(VALU_DEP_1) | instskip(SKIP_1) | instid1(VALU_DEP_2)
	v_mul_f16_e32 v3, v1, v101
	v_fmac_f16_e32 v4, v1, v50
	v_fma_f16 v3, v43, v50, -v3
	s_clause 0x1
	global_load_b32 v188, v[60:61], off offset:2164
	global_load_b128 v[40:43], v[60:61], off offset:2148
	ds_load_2addr_b32 v[191:192], v107 offset0:120 offset1:228
	ds_load_2addr_b32 v[198:199], v126 offset0:136 offset1:244
	s_waitcnt lgkmcnt(1)
	v_lshrrev_b32_e32 v105, 16, v191
	s_waitcnt lgkmcnt(0)
	v_lshrrev_b32_e32 v181, 16, v198
	s_waitcnt vmcnt(1)
	v_lshrrev_b32_e32 v6, 16, v188
	s_waitcnt vmcnt(0)
	v_lshrrev_b32_e32 v104, 16, v41
	v_lshrrev_b32_e32 v113, 16, v43
	s_delay_alu instid0(VALU_DEP_3) | instskip(NEXT) | instid1(VALU_DEP_3)
	v_mul_f16_e64 v175, v191, v6
	v_mul_f16_e32 v56, v58, v104
	v_mul_f16_e64 v226, v57, v104
	v_mul_f16_e64 v179, v105, v6
	s_delay_alu instid0(VALU_DEP_4) | instskip(NEXT) | instid1(VALU_DEP_4)
	v_fmac_f16_e64 v175, v105, v188
	v_fma_f16 v221, v57, v41, -v56
	ds_load_2addr_b32 v[56:57], v161 offset0:112 offset1:220
	v_fmac_f16_e64 v226, v58, v41
	v_lshrrev_b32_e32 v105, 16, v40
	s_delay_alu instid0(VALU_DEP_1) | instskip(NEXT) | instid1(VALU_DEP_1)
	v_mul_f16_e64 v6, v198, v105
	v_fmac_f16_e64 v6, v181, v40
	v_mul_f16_e64 v181, v181, v105
	s_delay_alu instid0(VALU_DEP_1)
	v_fma_f16 v198, v198, v40, -v181
	s_waitcnt lgkmcnt(0)
	v_lshrrev_b32_e32 v59, 16, v56
	v_lshrrev_b32_e32 v61, 16, v57
	v_mul_f16_e64 v173, v56, v110
	v_mul_f16_e64 v230, v57, v113
	s_delay_alu instid0(VALU_DEP_4) | instskip(NEXT) | instid1(VALU_DEP_4)
	v_mul_f16_e32 v60, v59, v110
	v_mul_f16_e32 v94, v61, v113
	s_delay_alu instid0(VALU_DEP_4)
	v_fmac_f16_e64 v173, v59, v51
	ds_load_2addr_b32 v[58:59], v88 offset0:64 offset1:172
	v_fmac_f16_e64 v230, v61, v43
	v_fma_f16 v60, v56, v51, -v60
	v_fma_f16 v227, v57, v43, -v94
	ds_load_2addr_b32 v[56:57], v154 offset1:108
	v_lshrrev_b32_e32 v94, 16, v42
	v_add_f16_e64 v1, v221, v227
	s_waitcnt lgkmcnt(1)
	s_delay_alu instid0(VALU_DEP_2)
	v_mul_f16_e32 v61, v58, v94
	s_waitcnt lgkmcnt(0)
	v_lshrrev_b32_e32 v243, 16, v57
	v_add_f16_e64 v5, v57, v221
	v_fmac_f16_e32 v57, -0.5, v1
	v_sub_f16_e64 v1, v226, v230
	v_sub_f16_e64 v221, v221, v227
	s_delay_alu instid0(VALU_DEP_2) | instskip(SKIP_2) | instid1(VALU_DEP_1)
	v_fma_f16 v254, 0x3aee, v1, v57
	v_fmac_f16_e32 v57, 0xbaee, v1
	v_lshrrev_b32_e32 v1, 16, v58
	v_fmac_f16_e32 v61, v1, v42
	v_mul_f16_e32 v1, v1, v94
	s_delay_alu instid0(VALU_DEP_1) | instskip(SKIP_1) | instid1(VALU_DEP_2)
	v_fma_f16 v1, v58, v42, -v1
	v_fma_f16 v58, v191, v188, -v179
	v_add_f16_e64 v181, v198, v1
	s_delay_alu instid0(VALU_DEP_2) | instskip(SKIP_1) | instid1(VALU_DEP_3)
	v_add_f16_e64 v179, v1, v58
	v_sub_f16_e32 v1, v1, v58
	v_add_f16_e64 v27, v181, v58
	s_delay_alu instid0(VALU_DEP_3) | instskip(SKIP_1) | instid1(VALU_DEP_1)
	v_fmac_f16_e64 v198, -0.5, v179
	v_sub_f16_e64 v179, v61, v175
	v_fma_f16 v231, 0x3aee, v179, v198
	v_fmac_f16_e64 v198, 0xbaee, v179
	v_add_f16_e64 v179, v61, v175
	v_add_f16_e32 v61, v6, v61
	s_delay_alu instid0(VALU_DEP_2) | instskip(SKIP_1) | instid1(VALU_DEP_3)
	v_fmac_f16_e64 v6, -0.5, v179
	v_add_f16_e64 v179, v137, v60
	v_add_f16_e64 v28, v61, v175
	s_delay_alu instid0(VALU_DEP_3) | instskip(SKIP_3) | instid1(VALU_DEP_2)
	v_fmamk_f16 v16, v1, 0xbaee, v6
	v_fmac_f16_e32 v6, 0x3aee, v1
	v_mul_f16_e64 v1, -0.5, v198
	v_fma_f16 v179, -0.5, v179, v56
	v_fmac_f16_e32 v1, 0x3aee, v6
	v_mul_f16_e32 v6, -0.5, v6
	s_delay_alu instid0(VALU_DEP_2)
	v_add_f16_e32 v67, v57, v1
	v_sub_f16_e32 v68, v57, v1
	v_lshrrev_b32_e32 v1, 16, v56
	v_add_f16_e64 v57, v135, v173
	v_add_f16_e64 v56, v56, v137
	v_fmac_f16_e64 v6, 0xbaee, v198
	s_delay_alu instid0(VALU_DEP_4) | instskip(NEXT) | instid1(VALU_DEP_4)
	v_add_f16_e64 v191, v1, v135
	v_fmac_f16_e32 v1, -0.5, v57
	v_sub_f16_e64 v57, v137, v60
	v_add_f16_e32 v56, v56, v60
	v_sub_f16_e64 v60, v135, v173
	s_delay_alu instid0(VALU_DEP_3) | instskip(SKIP_2) | instid1(VALU_DEP_4)
	v_fma_f16 v137, 0xbaee, v57, v1
	v_fmac_f16_e32 v1, 0x3aee, v57
	v_add_f16_e32 v57, v3, v100
	v_fma_f16 v135, 0x3aee, v60, v179
	v_fmac_f16_e64 v179, 0xbaee, v60
	v_add_f16_e64 v60, v191, v173
	v_add_f16_e64 v173, v2, v3
	v_fmac_f16_e32 v2, -0.5, v57
	v_add_f16_e64 v57, v4, v129
	v_add_f16_e64 v191, v0, v4
	v_sub_f16_e32 v3, v3, v100
	v_sub_f16_e64 v4, v4, v129
	s_delay_alu instid0(VALU_DEP_4) | instskip(SKIP_1) | instid1(VALU_DEP_3)
	v_fmac_f16_e32 v0, -0.5, v57
	v_add_f16_e64 v57, v173, v100
	v_fmamk_f16 v100, v4, 0x3aee, v2
	v_fmac_f16_e32 v2, 0xbaee, v4
	v_add_f16_e64 v4, v191, v129
	v_fma_f16 v129, 0xbaee, v3, v0
	v_fmac_f16_e32 v0, 0x3aee, v3
	s_delay_alu instid0(VALU_DEP_3) | instskip(NEXT) | instid1(VALU_DEP_3)
	v_add_f16_e64 v173, v60, v4
	v_mul_f16_e64 v3, 0x3aee, v129
	v_sub_f16_e32 v4, v60, v4
	s_delay_alu instid0(VALU_DEP_2) | instskip(SKIP_1) | instid1(VALU_DEP_1)
	v_fmac_f16_e32 v3, 0.5, v100
	v_mul_f16_e32 v100, 0xbaee, v100
	v_fmac_f16_e64 v100, 0.5, v129
	v_mul_f16_e64 v129, -0.5, v2
	s_delay_alu instid0(VALU_DEP_2) | instskip(NEXT) | instid1(VALU_DEP_2)
	v_add_f16_e64 v60, v137, v100
	v_fmac_f16_e64 v129, 0x3aee, v0
	v_mul_f16_e32 v0, -0.5, v0
	v_sub_f16_e64 v100, v137, v100
	s_delay_alu instid0(VALU_DEP_2)
	v_fmac_f16_e32 v0, 0xbaee, v2
	v_add_f16_e32 v2, v56, v57
	v_sub_f16_e32 v56, v56, v57
	v_add_f16_e64 v57, v135, v3
	v_sub_f16_e64 v3, v135, v3
	v_add_f16_e64 v135, v179, v129
	v_sub_f16_e64 v129, v179, v129
	v_add_f16_e64 v137, v1, v0
	v_sub_f16_e32 v0, v1, v0
	v_pack_b32_f16 v1, v57, v60
	v_pack_b32_f16 v60, v3, v100
	v_add_f16_e64 v100, v5, v227
	v_pack_b32_f16 v58, v2, v173
	v_pack_b32_f16 v61, v129, v0
	v_add_f16_e64 v0, v243, v226
	v_pack_b32_f16 v57, v135, v137
	v_pack_b32_f16 v56, v56, v4
	ds_store_b32 v154, v1 offset:2160
	v_lshrrev_b32_e32 v129, 16, v59
	v_add_f16_e64 v26, v0, v230
	v_add_f16_e32 v0, v100, v27
	v_lshrrev_b32_e32 v137, 16, v192
	v_add_f16_e64 v230, v226, v230
	s_delay_alu instid0(VALU_DEP_4) | instskip(NEXT) | instid1(VALU_DEP_2)
	v_add_f16_e32 v2, v26, v28
	v_fmac_f16_e64 v243, -0.5, v230
	s_delay_alu instid0(VALU_DEP_2)
	v_pack_b32_f16 v66, v0, v2
	ds_load_2addr_b32 v[2:3], v240 offset0:88 offset1:196
	ds_load_2addr_b32 v[0:1], v138 offset0:16 offset1:124
	;; [unrolled: 1-line block ×3, first 2 shown]
	ds_store_b32 v154, v57 offset:4320
	ds_store_b32 v154, v56 offset:6480
	;; [unrolled: 1-line block ×4, first 2 shown]
	ds_store_2addr_b32 v154, v58, v66 offset1:108
	s_clause 0x1
	global_load_b32 v191, v[62:63], off offset:2164
	global_load_b128 v[60:63], v[62:63], off offset:2148
	v_lshrrev_b32_e32 v66, 16, v199
	s_waitcnt lgkmcnt(7)
	v_lshrrev_b32_e32 v198, 16, v3
	s_waitcnt vmcnt(1)
	v_lshrrev_b32_e32 v8, 16, v191
	s_waitcnt vmcnt(0)
	v_lshrrev_b32_e32 v135, 16, v60
	v_lshrrev_b32_e32 v181, 16, v62
	s_delay_alu instid0(VALU_DEP_3) | instskip(NEXT) | instid1(VALU_DEP_3)
	v_mul_f16_e64 v9, v192, v8
	v_mul_f16_e64 v56, v66, v135
	s_delay_alu instid0(VALU_DEP_3) | instskip(NEXT) | instid1(VALU_DEP_3)
	v_mul_f16_e64 v31, v59, v181
	v_fmac_f16_e64 v9, v137, v191
	s_delay_alu instid0(VALU_DEP_3) | instskip(SKIP_1) | instid1(VALU_DEP_4)
	v_fma_f16 v7, v199, v60, -v56
	v_mul_f16_e64 v56, v129, v181
	v_fmac_f16_e64 v31, v129, v62
	v_mul_f16_e64 v199, v199, v135
	s_delay_alu instid0(VALU_DEP_3) | instskip(SKIP_2) | instid1(VALU_DEP_4)
	v_fma_f16 v175, v59, v62, -v56
	v_mul_f16_e64 v56, v137, v8
	v_lshrrev_b32_e32 v137, 16, v63
	v_fmac_f16_e64 v199, v66, v60
	s_delay_alu instid0(VALU_DEP_4) | instskip(NEXT) | instid1(VALU_DEP_4)
	v_add_f16_e64 v29, v7, v175
	v_fma_f16 v14, v192, v191, -v56
	s_clause 0x1
	global_load_b32 v192, v[64:65], off offset:2164
	global_load_b128 v[56:59], v[64:65], off offset:2148
	s_waitcnt lgkmcnt(5)
	v_mul_f16_e64 v8, v4, v137
	v_add_f16_e64 v30, v199, v31
	s_waitcnt vmcnt(0)
	v_lshrrev_b32_e32 v64, 16, v56
	v_lshrrev_b32_e32 v129, 16, v58
	;; [unrolled: 1-line block ×3, first 2 shown]
	s_delay_alu instid0(VALU_DEP_3) | instskip(SKIP_1) | instid1(VALU_DEP_4)
	v_mul_f16_e32 v18, v17, v64
	v_mul_f16_e64 v19, v136, v64
	v_mul_f16_e64 v22, v13, v129
	;; [unrolled: 1-line block ×4, first 2 shown]
	v_fma_f16 v18, v136, v56, -v18
	v_lshrrev_b32_e32 v136, 16, v61
	v_fmac_f16_e32 v19, v17, v56
	v_lshrrev_b32_e32 v17, 16, v0
	v_fma_f16 v22, v180, v58, -v22
	v_lshrrev_b32_e32 v180, 16, v4
	v_mul_f16_e64 v65, v0, v136
	v_fmac_f16_e32 v23, v13, v58
	v_mul_f16_e64 v13, 0xbaee, v231
	v_add_f16_e64 v230, v18, v22
	v_fmac_f16_e64 v8, v180, v63
	v_fmac_f16_e32 v65, v17, v61
	v_mul_f16_e64 v17, v17, v136
	v_mul_f16_e64 v180, v180, v137
	v_fmac_f16_e32 v13, 0.5, v16
	s_delay_alu instid0(VALU_DEP_3)
	v_fma_f16 v12, v0, v61, -v17
	v_lshrrev_b32_e32 v17, 16, v1
	v_lshrrev_b32_e32 v0, 16, v192
	v_fma_f16 v11, v4, v63, -v180
	v_lshrrev_b32_e32 v4, 16, v5
	v_lshrrev_b32_e32 v180, 16, v59
	v_mul_f16_e64 v66, v17, v179
	v_fmac_f16_e32 v10, v17, v57
	s_delay_alu instid0(VALU_DEP_3) | instskip(NEXT) | instid1(VALU_DEP_3)
	v_mul_f16_e64 v173, v4, v180
	v_fma_f16 v66, v1, v57, -v66
	v_lshrrev_b32_e32 v1, 16, v99
	s_delay_alu instid0(VALU_DEP_3) | instskip(SKIP_1) | instid1(VALU_DEP_3)
	v_fma_f16 v173, v5, v59, -v173
	v_mul_f16_e64 v5, v5, v180
	v_mul_f16_e64 v226, v1, v0
	s_delay_alu instid0(VALU_DEP_2) | instskip(NEXT) | instid1(VALU_DEP_2)
	v_fmac_f16_e32 v5, v4, v59
	v_fma_f16 v226, v99, v192, -v226
	v_mul_f16_e32 v99, v99, v0
	v_mul_f16_e32 v4, 0x3aee, v16
	s_delay_alu instid0(VALU_DEP_2) | instskip(SKIP_4) | instid1(VALU_DEP_4)
	v_fmac_f16_e64 v99, v1, v192
	v_fma_f16 v1, 0xbaee, v221, v243
	v_fmac_f16_e64 v243, 0x3aee, v221
	v_add_f16_e64 v221, v3, v66
	v_fmac_f16_e64 v4, 0.5, v231
	v_add_f16_e32 v17, v1, v13
	v_sub_f16_e32 v20, v1, v13
	v_add_f16_e64 v13, v66, v173
	v_add_f16_e32 v1, v65, v8
	v_add_f16_e64 v16, v254, v4
	v_sub_f16_e64 v21, v254, v4
	v_add_f16_e64 v254, v12, v11
	v_fmac_f16_e32 v3, -0.5, v13
	v_sub_f16_e32 v13, v10, v5
	v_add_f16_e32 v4, v2, v12
	v_pack_b32_f16 v20, v21, v20
	v_fma_f16 v254, -0.5, v254, v2
	v_sub_f16_e32 v21, v65, v8
	v_fma_f16 v227, 0x3aee, v13, v3
	v_fmac_f16_e32 v3, 0xbaee, v13
	v_add_f16_e64 v13, v22, v226
	v_sub_f16_e32 v12, v12, v11
	v_pack_b32_f16 v16, v16, v17
	v_add_f16_e64 v17, v243, v6
	v_add_f16_e32 v4, v4, v11
	v_fmac_f16_e32 v18, -0.5, v13
	v_sub_f16_e32 v13, v23, v99
	s_delay_alu instid0(VALU_DEP_4) | instskip(NEXT) | instid1(VALU_DEP_2)
	v_pack_b32_f16 v17, v67, v17
	v_fma_f16 v231, 0x3aee, v13, v18
	v_fmac_f16_e32 v18, 0xbaee, v13
	v_add_f16_e32 v13, v23, v99
	v_add_f16_e32 v23, v19, v23
	s_delay_alu instid0(VALU_DEP_2) | instskip(SKIP_1) | instid1(VALU_DEP_1)
	v_fmac_f16_e32 v19, -0.5, v13
	v_sub_f16_e64 v13, v22, v226
	v_fmamk_f16 v22, v13, 0xbaee, v19
	v_fmac_f16_e32 v19, 0x3aee, v13
	v_mul_f16_e32 v13, -0.5, v18
	s_delay_alu instid0(VALU_DEP_1) | instskip(NEXT) | instid1(VALU_DEP_1)
	v_fmac_f16_e32 v13, 0x3aee, v19
	v_add_f16_e32 v25, v3, v13
	v_sub_f16_e32 v32, v3, v13
	v_lshrrev_b32_e32 v13, 16, v2
	v_sub_f16_e64 v2, v175, v14
	s_delay_alu instid0(VALU_DEP_2) | instskip(SKIP_2) | instid1(VALU_DEP_3)
	v_add_f16_e32 v3, v13, v65
	v_fmac_f16_e32 v13, -0.5, v1
	v_add_f16_e64 v1, v175, v14
	v_add_f16_e32 v3, v3, v8
	s_delay_alu instid0(VALU_DEP_3) | instskip(NEXT) | instid1(VALU_DEP_3)
	v_fmamk_f16 v65, v12, 0xbaee, v13
	v_fmac_f16_e32 v7, -0.5, v1
	v_add_f16_e32 v1, v31, v9
	v_add_f16_e32 v8, v29, v14
	v_fmac_f16_e32 v13, 0x3aee, v12
	s_delay_alu instid0(VALU_DEP_3) | instskip(SKIP_3) | instid1(VALU_DEP_4)
	v_fmac_f16_e64 v199, -0.5, v1
	v_sub_f16_e32 v1, v31, v9
	v_add_f16_e32 v9, v30, v9
	v_sub_f16_e32 v14, v4, v8
	v_fma_f16 v31, 0xbaee, v2, v199
	s_delay_alu instid0(VALU_DEP_4)
	v_fma_f16 v175, 0x3aee, v1, v7
	v_fmac_f16_e32 v7, 0xbaee, v1
	v_fmac_f16_e64 v199, 0x3aee, v2
	v_sub_f16_e64 v1, v243, v6
	v_mul_f16_e32 v0, 0x3aee, v31
	v_mul_f16_e64 v34, 0xbaee, v175
	v_mul_f16_e32 v2, -0.5, v7
	v_mul_f16_e64 v6, -0.5, v199
	v_pack_b32_f16 v1, v68, v1
	v_fmac_f16_e64 v0, 0.5, v175
	v_fmac_f16_e32 v34, 0.5, v31
	v_fma_f16 v31, 0x3aee, v21, v254
	v_fmac_f16_e64 v254, 0xbaee, v21
	v_fmac_f16_e64 v2, 0x3aee, v199
	v_fmac_f16_e32 v6, 0xbaee, v7
	v_add_f16_e64 v175, v65, v34
	v_add_f16_e32 v67, v31, v0
	v_sub_f16_e32 v0, v31, v0
	v_sub_f16_e64 v7, v254, v2
	v_add_f16_e64 v2, v254, v2
	s_delay_alu instid0(VALU_DEP_4)
	v_pack_b32_f16 v67, v67, v175
	ds_store_b32 v154, v17 offset:4752
	ds_store_b32 v154, v20 offset:9072
	ds_store_2addr_b32 v126, v16, v67 offset0:136 offset1:244
	v_sub_f16_e32 v16, v100, v27
	v_sub_f16_e32 v17, v26, v28
	s_delay_alu instid0(VALU_DEP_1) | instskip(SKIP_2) | instid1(VALU_DEP_2)
	v_pack_b32_f16 v11, v16, v17
	v_sub_f16_e32 v16, v3, v9
	v_add_f16_e32 v3, v3, v9
	v_pack_b32_f16 v14, v14, v16
	ds_store_2addr_b32 v88, v11, v14 offset0:64 offset1:172
	v_sub_f16_e32 v11, v13, v6
	s_delay_alu instid0(VALU_DEP_1)
	v_pack_b32_f16 v7, v7, v11
	ds_store_2addr_b32 v107, v1, v7 offset0:120 offset1:228
	v_add_f16_e32 v1, v4, v8
	v_add_f16_e64 v8, v198, v10
	v_add_f16_e64 v4, v230, v226
	v_add_f16_e32 v7, v23, v99
	s_delay_alu instid0(VALU_DEP_4) | instskip(SKIP_2) | instid1(VALU_DEP_2)
	v_pack_b32_f16 v1, v1, v3
	v_add_f16_e64 v3, v221, v173
	v_add_f16_e32 v8, v8, v5
	v_add_f16_e32 v9, v3, v4
	s_delay_alu instid0(VALU_DEP_2)
	v_add_f16_e32 v11, v8, v7
	v_sub_f16_e32 v3, v3, v4
	v_sub_f16_e32 v4, v8, v7
	v_mul_f16_e64 v7, 0xbaee, v231
	v_add_f16_e64 v8, v151, v24
	v_pack_b32_f16 v9, v9, v11
	s_delay_alu instid0(VALU_DEP_3)
	v_fmac_f16_e32 v7, 0.5, v22
	ds_store_2addr_b32 v240, v1, v9 offset0:88 offset1:196
	v_add_f16_e32 v1, v10, v5
	v_add_f16_e32 v5, v13, v6
	v_add_f16_e64 v10, v196, v189
	v_add_f16_e64 v9, v77, v194
	s_delay_alu instid0(VALU_DEP_4) | instskip(SKIP_3) | instid1(VALU_DEP_3)
	v_fmac_f16_e64 v198, -0.5, v1
	v_sub_f16_e64 v1, v66, v173
	v_pack_b32_f16 v2, v2, v5
	v_add_f16_e64 v10, v10, v195
	v_fma_f16 v6, 0xbaee, v1, v198
	v_fmac_f16_e64 v198, 0x3aee, v1
	v_mul_f16_e32 v1, -0.5, v19
	s_delay_alu instid0(VALU_DEP_4) | instskip(NEXT) | instid1(VALU_DEP_2)
	v_add_f16_e32 v12, v10, v8
	v_fmac_f16_e32 v1, 0xbaee, v18
	s_delay_alu instid0(VALU_DEP_1) | instskip(SKIP_1) | instid1(VALU_DEP_2)
	v_add_f16_e64 v5, v198, v1
	v_sub_f16_e64 v1, v198, v1
	v_pack_b32_f16 v5, v25, v5
	s_delay_alu instid0(VALU_DEP_2) | instskip(SKIP_3) | instid1(VALU_DEP_2)
	v_pack_b32_f16 v1, v32, v1
	ds_store_2addr_b32 v138, v2, v5 offset0:16 offset1:124
	v_mul_f16_e32 v5, 0x3aee, v22
	v_sub_f16_e32 v2, v65, v34
	v_fmac_f16_e64 v5, 0.5, v231
	s_delay_alu instid0(VALU_DEP_2) | instskip(SKIP_2) | instid1(VALU_DEP_4)
	v_pack_b32_f16 v0, v0, v2
	v_pack_b32_f16 v2, v3, v4
	v_sub_f16_e32 v4, v6, v7
	v_sub_f16_e64 v3, v227, v5
	s_delay_alu instid0(VALU_DEP_1)
	v_pack_b32_f16 v3, v3, v4
	ds_store_b32 v154, v2 offset:7776
	ds_store_2addr_b32 v150, v0, v3 offset0:72 offset1:180
	v_add_f16_e64 v0, v189, v195
	v_add_f16_e64 v4, v147, v117
	;; [unrolled: 1-line block ×3, first 2 shown]
	v_add_f16_e32 v3, v6, v7
	v_mul_f16_e64 v5, 0x3aee, v190
	v_fmac_f16_e64 v196, -0.5, v0
	v_sub_f16_e64 v0, v193, v194
	v_mul_f16_e64 v6, 0xbaee, v148
	v_add_f16_e32 v11, v9, v4
	v_fmac_f16_e64 v5, 0.5, v148
	v_pack_b32_f16 v2, v2, v3
	v_fma_f16 v3, 0xbaee, v0, v196
	v_fmac_f16_e64 v6, 0.5, v190
	v_fmac_f16_e64 v196, 0x3aee, v0
	v_mul_f16_e32 v0, -0.5, v15
	v_pack_b32_f16 v11, v11, v12
	v_add_f16_e64 v7, v197, v5
	v_add_f16_e32 v12, v3, v6
	v_sub_f16_e32 v3, v3, v6
	v_fmac_f16_e64 v0, 0xbaee, v132
	v_dual_mov_b32 v147, v133 :: v_dual_mov_b32 v132, v107
	s_delay_alu instid0(VALU_DEP_4)
	v_pack_b32_f16 v7, v7, v12
	ds_store_b32 v154, v1 offset:12096
	ds_store_b32 v154, v11 offset:1728
	ds_store_2addr_b32 v82, v2, v7 offset0:96 offset1:204
	v_sub_f16_e64 v2, v197, v5
	v_add_f16_e64 v5, v196, v0
	v_sub_f16_e32 v1, v9, v4
	v_sub_f16_e32 v4, v10, v8
	v_sub_f16_e64 v0, v196, v0
	v_pack_b32_f16 v2, v2, v3
	v_pack_b32_f16 v5, v200, v5
	s_delay_alu instid0(VALU_DEP_4) | instskip(NEXT) | instid1(VALU_DEP_4)
	v_pack_b32_f16 v1, v1, v4
	v_pack_b32_f16 v0, v218, v0
	ds_store_b32 v154, v5 offset:6048
	ds_store_b32 v154, v1 offset:8208
	;; [unrolled: 1-line block ×4, first 2 shown]
	s_waitcnt lgkmcnt(0)
	s_barrier
	buffer_gl0_inv
	global_load_b32 v65, v[237:238], off offset:672
	v_add_co_u32 v0, vcc_lo, 0x32a0, v163
	v_add_co_ci_u32_e32 v1, vcc_lo, 0, v164, vcc_lo
	s_clause 0x4
	global_load_b32 v6, v[0:1], off offset:432
	global_load_b32 v2, v[0:1], off offset:1728
	;; [unrolled: 1-line block ×5, first 2 shown]
	ds_load_2addr_b32 v[10:11], v154 offset1:108
	s_waitcnt lgkmcnt(0)
	v_lshrrev_b32_e32 v4, 16, v10
	s_waitcnt vmcnt(5)
	v_lshrrev_b32_e32 v3, 16, v65
	s_delay_alu instid0(VALU_DEP_1) | instskip(NEXT) | instid1(VALU_DEP_3)
	v_mul_f16_e32 v5, v10, v3
	v_mul_f16_e32 v3, v4, v3
	s_delay_alu instid0(VALU_DEP_2) | instskip(NEXT) | instid1(VALU_DEP_2)
	v_fmac_f16_e32 v5, v4, v65
	v_fma_f16 v3, v10, v65, -v3
	v_add_co_u32 v4, vcc_lo, 0x4000, v163
	s_delay_alu instid0(VALU_DEP_2)
	v_pack_b32_f16 v3, v3, v5
	v_add_co_ci_u32_e32 v5, vcc_lo, 0, v164, vcc_lo
	v_add_co_u32 v193, vcc_lo, 0x5000, v163
	ds_store_b32 v154, v3
	s_clause 0x4
	global_load_b32 v3, v[4:5], off offset:1328
	global_load_b32 v9, v[4:5], off offset:1760
	;; [unrolled: 1-line block ×5, first 2 shown]
	ds_load_2addr_b32 v[7:8], v162 offset0:56 offset1:164
	ds_load_2addr_b32 v[65:66], v138 offset0:16 offset1:124
	v_add_co_ci_u32_e32 v194, vcc_lo, 0, v164, vcc_lo
	v_add_co_u32 v163, vcc_lo, 0x6000, v163
	v_add_co_ci_u32_e32 v164, vcc_lo, 0, v164, vcc_lo
	s_waitcnt lgkmcnt(1)
	v_lshrrev_b32_e32 v18, 16, v8
	s_waitcnt vmcnt(4)
	v_lshrrev_b32_e32 v10, 16, v3
	s_delay_alu instid0(VALU_DEP_1) | instskip(NEXT) | instid1(VALU_DEP_3)
	v_mul_f16_e32 v19, v8, v10
	v_mul_f16_e32 v10, v18, v10
	s_delay_alu instid0(VALU_DEP_2) | instskip(NEXT) | instid1(VALU_DEP_2)
	v_fmac_f16_e32 v19, v18, v3
	v_fma_f16 v3, v8, v3, -v10
	s_waitcnt vmcnt(3)
	v_lshrrev_b32_e32 v8, 16, v9
	s_waitcnt lgkmcnt(0)
	v_lshrrev_b32_e32 v10, 16, v65
	v_pack_b32_f16 v3, v3, v19
	s_delay_alu instid0(VALU_DEP_3) | instskip(NEXT) | instid1(VALU_DEP_3)
	v_mul_f16_e32 v18, v65, v8
	v_mul_f16_e32 v8, v10, v8
	s_delay_alu instid0(VALU_DEP_2) | instskip(NEXT) | instid1(VALU_DEP_2)
	v_fmac_f16_e32 v18, v10, v9
	v_fma_f16 v8, v65, v9, -v8
	v_add_nc_u32_e32 v9, 0x1200, v154
	s_delay_alu instid0(VALU_DEP_2)
	v_pack_b32_f16 v8, v8, v18
	ds_store_2addr_b32 v9, v3, v8 offset0:36 offset1:144
	s_clause 0x3
	global_load_b32 v3, v[193:194], off offset:1552
	global_load_b32 v8, v[193:194], off offset:1984
	;; [unrolled: 1-line block ×4, first 2 shown]
	ds_load_2addr_b32 v[195:196], v161 offset0:112 offset1:220
	ds_load_2addr_b32 v[198:199], v240 offset0:88 offset1:196
	s_waitcnt lgkmcnt(1)
	v_lshrrev_b32_e32 v10, 16, v196
	s_waitcnt vmcnt(3)
	v_lshrrev_b32_e32 v9, 16, v3
	s_delay_alu instid0(VALU_DEP_1) | instskip(NEXT) | instid1(VALU_DEP_3)
	v_mul_f16_e64 v20, v196, v9
	v_mul_f16_e32 v9, v10, v9
	s_delay_alu instid0(VALU_DEP_2) | instskip(NEXT) | instid1(VALU_DEP_2)
	v_fmac_f16_e32 v20, v10, v3
	v_fma_f16 v3, v196, v3, -v9
	ds_load_2addr_b32 v[196:197], v150 offset0:72 offset1:180
	s_waitcnt vmcnt(2)
	v_lshrrev_b32_e32 v9, 16, v8
	v_pack_b32_f16 v3, v3, v20
	s_waitcnt lgkmcnt(0)
	v_lshrrev_b32_e32 v10, 16, v196
	s_delay_alu instid0(VALU_DEP_3) | instskip(NEXT) | instid1(VALU_DEP_2)
	v_mul_f16_e64 v21, v196, v9
	v_mul_f16_e32 v9, v10, v9
	s_delay_alu instid0(VALU_DEP_2) | instskip(NEXT) | instid1(VALU_DEP_2)
	v_fmac_f16_e32 v21, v10, v8
	v_fma_f16 v8, v196, v8, -v9
	v_add_nc_u32_e32 v9, 0x2200, v154
	s_delay_alu instid0(VALU_DEP_2)
	v_pack_b32_f16 v8, v8, v21
	ds_store_2addr_b32 v9, v3, v8 offset0:92 offset1:200
	global_load_b32 v3, v[0:1], off offset:1296
	v_lshrrev_b32_e32 v9, 16, v199
	s_waitcnt vmcnt(0)
	v_lshrrev_b32_e32 v8, 16, v3
	s_delay_alu instid0(VALU_DEP_1) | instskip(NEXT) | instid1(VALU_DEP_3)
	v_mul_f16_e64 v20, v199, v8
	v_mul_f16_e32 v8, v9, v8
	s_delay_alu instid0(VALU_DEP_2) | instskip(SKIP_3) | instid1(VALU_DEP_2)
	v_fmac_f16_e32 v20, v9, v3
	ds_load_2addr_b32 v[9:10], v241 offset0:48 offset1:156
	v_fma_f16 v3, v199, v3, -v8
	v_lshrrev_b32_e32 v8, 16, v2
	v_pack_b32_f16 v3, v3, v20
	s_waitcnt lgkmcnt(0)
	v_lshrrev_b32_e32 v21, 16, v9
	s_delay_alu instid0(VALU_DEP_3) | instskip(NEXT) | instid1(VALU_DEP_2)
	v_mul_f16_e32 v22, v9, v8
	v_mul_f16_e32 v8, v21, v8
	s_delay_alu instid0(VALU_DEP_2) | instskip(NEXT) | instid1(VALU_DEP_2)
	v_fmac_f16_e32 v22, v21, v2
	v_fma_f16 v2, v9, v2, -v8
	v_add_nc_u32_e32 v8, 0x400, v154
	s_delay_alu instid0(VALU_DEP_2) | instskip(SKIP_3) | instid1(VALU_DEP_1)
	v_pack_b32_f16 v2, v2, v22
	ds_store_2addr_b32 v8, v3, v2 offset0:68 offset1:176
	v_lshrrev_b32_e32 v2, 16, v197
	v_lshrrev_b32_e32 v3, 16, v18
	v_mul_f16_e32 v8, v2, v3
	v_mul_f16_e64 v3, v197, v3
	s_delay_alu instid0(VALU_DEP_2) | instskip(NEXT) | instid1(VALU_DEP_2)
	v_fma_f16 v8, v197, v18, -v8
	v_fmac_f16_e32 v3, v2, v18
	s_clause 0x4
	global_load_b32 v2, v[193:194], off offset:2848
	global_load_b32 v18, v[193:194], off offset:3280
	;; [unrolled: 1-line block ×5, first 2 shown]
	ds_load_2addr_b32 v[196:197], v228 offset0:32 offset1:140
	v_pack_b32_f16 v3, v8, v3
	v_add_nc_u32_e32 v8, 0x2600, v154
	s_waitcnt lgkmcnt(0)
	v_lshrrev_b32_e32 v23, 16, v196
	s_waitcnt vmcnt(4)
	v_lshrrev_b32_e32 v9, 16, v2
	s_delay_alu instid0(VALU_DEP_1) | instskip(NEXT) | instid1(VALU_DEP_3)
	v_mul_f16_e64 v24, v196, v9
	v_mul_f16_e32 v9, v23, v9
	s_delay_alu instid0(VALU_DEP_2) | instskip(NEXT) | instid1(VALU_DEP_2)
	v_fmac_f16_e32 v24, v23, v2
	v_fma_f16 v2, v196, v2, -v9
	s_delay_alu instid0(VALU_DEP_1)
	v_pack_b32_f16 v2, v2, v24
	ds_store_2addr_b32 v8, v3, v2 offset0:52 offset1:160
	global_load_b32 v8, v[4:5], off offset:3056
	ds_load_2addr_b32 v[2:3], v133 offset0:104 offset1:212
	s_waitcnt lgkmcnt(0)
	v_lshrrev_b32_e32 v23, 16, v3
	s_waitcnt vmcnt(0)
	v_lshrrev_b32_e32 v9, 16, v8
	s_delay_alu instid0(VALU_DEP_1) | instskip(NEXT) | instid1(VALU_DEP_3)
	v_mul_f16_e32 v24, v3, v9
	v_mul_f16_e32 v9, v23, v9
	s_delay_alu instid0(VALU_DEP_2) | instskip(NEXT) | instid1(VALU_DEP_2)
	v_fmac_f16_e32 v24, v23, v8
	v_fma_f16 v3, v3, v8, -v9
	s_clause 0x3
	global_load_b32 v8, v[4:5], off offset:3488
	global_load_b32 v23, v[4:5], off offset:3920
	;; [unrolled: 1-line block ×4, first 2 shown]
	ds_load_2addr_b32 v[4:5], v88 offset0:64 offset1:172
	ds_load_2addr_b32 v[193:194], v126 offset0:136 offset1:244
	v_pack_b32_f16 v3, v3, v24
	s_waitcnt lgkmcnt(1)
	v_lshrrev_b32_e32 v27, 16, v4
	s_waitcnt vmcnt(3)
	v_lshrrev_b32_e32 v9, 16, v8
	s_delay_alu instid0(VALU_DEP_1) | instskip(NEXT) | instid1(VALU_DEP_3)
	v_mul_f16_e32 v28, v4, v9
	v_mul_f16_e32 v9, v27, v9
	s_delay_alu instid0(VALU_DEP_2) | instskip(NEXT) | instid1(VALU_DEP_2)
	v_fmac_f16_e32 v28, v27, v8
	v_fma_f16 v4, v4, v8, -v9
	v_add_nc_u32_e32 v8, 0x1800, v154
	s_delay_alu instid0(VALU_DEP_2)
	v_pack_b32_f16 v4, v4, v28
	ds_store_2addr_b32 v8, v3, v4 offset0:84 offset1:192
	global_load_b32 v3, v[0:1], off offset:3024
	s_waitcnt lgkmcnt(1)
	v_lshrrev_b32_e32 v8, 16, v194
	s_waitcnt vmcnt(0)
	v_lshrrev_b32_e32 v4, 16, v3
	s_delay_alu instid0(VALU_DEP_1) | instskip(NEXT) | instid1(VALU_DEP_3)
	v_mul_f16_e64 v24, v194, v4
	v_mul_f16_e32 v4, v8, v4
	s_delay_alu instid0(VALU_DEP_2) | instskip(NEXT) | instid1(VALU_DEP_2)
	v_fmac_f16_e32 v24, v8, v3
	v_fma_f16 v3, v194, v3, -v4
	s_clause 0x1
	global_load_b32 v4, v[0:1], off offset:3456
	global_load_b32 v27, v[0:1], off offset:3888
	ds_load_2addr_b32 v[8:9], v82 offset0:96 offset1:204
	s_waitcnt lgkmcnt(0)
	v_lshrrev_b32_e32 v1, 16, v8
	s_waitcnt vmcnt(1)
	v_lshrrev_b32_e32 v0, 16, v4
	s_delay_alu instid0(VALU_DEP_1) | instskip(NEXT) | instid1(VALU_DEP_3)
	v_mul_f16_e32 v28, v8, v0
	v_mul_f16_e32 v0, v1, v0
	s_delay_alu instid0(VALU_DEP_2) | instskip(NEXT) | instid1(VALU_DEP_2)
	v_fmac_f16_e32 v28, v1, v4
	v_fma_f16 v0, v8, v4, -v0
	v_pack_b32_f16 v1, v3, v24
	v_add_nc_u32_e32 v3, 0xa00, v154
	s_delay_alu instid0(VALU_DEP_3) | instskip(SKIP_3) | instid1(VALU_DEP_1)
	v_pack_b32_f16 v0, v0, v28
	ds_store_2addr_b32 v3, v1, v0 offset0:116 offset1:224
	v_lshrrev_b32_e32 v0, 16, v5
	v_lshrrev_b32_e32 v1, 16, v23
	v_mul_f16_e32 v3, v0, v1
	v_mul_f16_e32 v1, v5, v1
	s_delay_alu instid0(VALU_DEP_2) | instskip(SKIP_3) | instid1(VALU_DEP_2)
	v_fma_f16 v3, v5, v23, -v3
	ds_load_2addr_b32 v[4:5], v149 offset0:24 offset1:132
	v_fmac_f16_e32 v1, v0, v23
	v_lshrrev_b32_e32 v0, 16, v25
	v_pack_b32_f16 v1, v3, v1
	v_add_nc_u32_e32 v3, 0x1c00, v154
	s_waitcnt lgkmcnt(0)
	v_lshrrev_b32_e32 v8, 16, v4
	v_mul_f16_e32 v23, v4, v0
	s_delay_alu instid0(VALU_DEP_2) | instskip(NEXT) | instid1(VALU_DEP_2)
	v_mul_f16_e32 v0, v8, v0
	v_fmac_f16_e32 v23, v8, v25
	v_lshrrev_b32_e32 v8, 16, v20
	s_delay_alu instid0(VALU_DEP_3) | instskip(NEXT) | instid1(VALU_DEP_1)
	v_fma_f16 v0, v4, v25, -v0
	v_pack_b32_f16 v0, v0, v23
	ds_store_2addr_b32 v3, v1, v0 offset0:44 offset1:152
	global_load_b32 v0, v[163:164], off offset:48
	ds_load_2addr_b32 v[163:164], v107 offset0:120 offset1:228
	s_waitcnt lgkmcnt(0)
	v_lshrrev_b32_e32 v3, 16, v164
	s_waitcnt vmcnt(0)
	v_lshrrev_b32_e32 v1, 16, v0
	s_delay_alu instid0(VALU_DEP_1) | instskip(NEXT) | instid1(VALU_DEP_3)
	v_mul_f16_e64 v4, v164, v1
	v_mul_f16_e32 v1, v3, v1
	s_delay_alu instid0(VALU_DEP_2) | instskip(NEXT) | instid1(VALU_DEP_2)
	v_fmac_f16_e32 v4, v3, v0
	v_fma_f16 v3, v164, v0, -v1
	ds_load_2addr_b32 v[0:1], v185 offset0:80 offset1:188
	v_pack_b32_f16 v3, v3, v4
	v_add_nc_u32_e32 v4, 0x2c00, v154
	s_waitcnt lgkmcnt(0)
	v_lshrrev_b32_e32 v23, 16, v0
	v_mul_f16_e32 v24, v0, v8
	s_delay_alu instid0(VALU_DEP_2) | instskip(NEXT) | instid1(VALU_DEP_2)
	v_mul_f16_e32 v8, v23, v8
	v_fmac_f16_e32 v24, v23, v20
	s_delay_alu instid0(VALU_DEP_2) | instskip(NEXT) | instid1(VALU_DEP_1)
	v_fma_f16 v0, v0, v20, -v8
	v_pack_b32_f16 v0, v0, v24
	ds_store_2addr_b32 v4, v3, v0 offset0:100 offset1:208
	v_lshrrev_b32_e32 v0, 16, v7
	v_lshrrev_b32_e32 v3, 16, v17
	s_delay_alu instid0(VALU_DEP_1) | instskip(SKIP_1) | instid1(VALU_DEP_2)
	v_mul_f16_e32 v4, v0, v3
	v_mul_f16_e32 v3, v7, v3
	v_fma_f16 v4, v7, v17, -v4
	s_delay_alu instid0(VALU_DEP_2) | instskip(SKIP_2) | instid1(VALU_DEP_1)
	v_fmac_f16_e32 v3, v0, v17
	v_lshrrev_b32_e32 v0, 16, v9
	v_lshrrev_b32_e32 v7, 16, v27
	v_mul_f16_e32 v8, v0, v7
	v_mul_f16_e32 v7, v9, v7
	s_delay_alu instid0(VALU_DEP_2) | instskip(NEXT) | instid1(VALU_DEP_2)
	v_fma_f16 v8, v9, v27, -v8
	v_fmac_f16_e32 v7, v0, v27
	v_pack_b32_f16 v0, v4, v3
	v_add_nc_u32_e32 v4, 0xe00, v154
	s_delay_alu instid0(VALU_DEP_3) | instskip(SKIP_4) | instid1(VALU_DEP_1)
	v_pack_b32_f16 v3, v8, v7
	v_lshrrev_b32_e32 v7, 16, v6
	ds_store_2addr_b32 v4, v3, v0 offset0:76 offset1:184
	v_lshrrev_b32_e32 v0, 16, v195
	v_lshrrev_b32_e32 v3, 16, v19
	v_mul_f16_e32 v4, v0, v3
	v_mul_f16_e64 v3, v195, v3
	s_delay_alu instid0(VALU_DEP_2) | instskip(NEXT) | instid1(VALU_DEP_2)
	v_fma_f16 v4, v195, v19, -v4
	v_fmac_f16_e32 v3, v0, v19
	v_lshrrev_b32_e32 v0, 16, v11
	s_delay_alu instid0(VALU_DEP_1) | instskip(SKIP_1) | instid1(VALU_DEP_2)
	v_mul_f16_e32 v8, v0, v7
	v_mul_f16_e32 v7, v11, v7
	v_fma_f16 v8, v11, v6, -v8
	s_delay_alu instid0(VALU_DEP_2) | instskip(SKIP_3) | instid1(VALU_DEP_2)
	v_fmac_f16_e32 v7, v0, v6
	v_lshrrev_b32_e32 v0, 16, v198
	v_lshrrev_b32_e32 v6, 16, v14
	;; [unrolled: 1-line block ×3, first 2 shown]
	v_mul_f16_e32 v9, v0, v6
	v_mul_f16_e64 v6, v198, v6
	s_delay_alu instid0(VALU_DEP_2) | instskip(NEXT) | instid1(VALU_DEP_2)
	v_fma_f16 v9, v198, v14, -v9
	v_fmac_f16_e32 v6, v0, v14
	v_lshrrev_b32_e32 v0, 16, v66
	s_delay_alu instid0(VALU_DEP_2) | instskip(NEXT) | instid1(VALU_DEP_2)
	v_pack_b32_f16 v6, v9, v6
	v_mul_f16_e32 v14, v0, v11
	v_mul_f16_e32 v11, v66, v11
	v_lshrrev_b32_e32 v9, 16, v13
	s_delay_alu instid0(VALU_DEP_3) | instskip(NEXT) | instid1(VALU_DEP_3)
	v_fma_f16 v14, v66, v15, -v14
	v_fmac_f16_e32 v11, v0, v15
	v_lshrrev_b32_e32 v0, 16, v2
	v_lshrrev_b32_e32 v15, 16, v16
	s_delay_alu instid0(VALU_DEP_1) | instskip(SKIP_1) | instid1(VALU_DEP_2)
	v_mul_f16_e32 v17, v0, v15
	v_mul_f16_e32 v15, v2, v15
	v_fma_f16 v2, v2, v16, -v17
	s_delay_alu instid0(VALU_DEP_2) | instskip(SKIP_2) | instid1(VALU_DEP_3)
	v_fmac_f16_e32 v15, v0, v16
	v_pack_b32_f16 v0, v8, v7
	v_lshrrev_b32_e32 v7, 16, v18
	v_pack_b32_f16 v2, v2, v15
	ds_store_2addr_b32 v154, v0, v6 offset0:108 offset1:216
	v_pack_b32_f16 v0, v14, v11
	v_lshrrev_b32_e32 v11, 16, v22
	ds_store_2addr_b32 v138, v0, v2 offset0:124 offset1:232
	v_lshrrev_b32_e32 v0, 16, v10
	v_lshrrev_b32_e32 v2, 16, v12
	s_delay_alu instid0(VALU_DEP_1) | instskip(SKIP_1) | instid1(VALU_DEP_2)
	v_mul_f16_e32 v6, v0, v2
	v_mul_f16_e32 v2, v10, v2
	v_fma_f16 v6, v10, v12, -v6
	s_delay_alu instid0(VALU_DEP_2) | instskip(SKIP_1) | instid1(VALU_DEP_1)
	v_fmac_f16_e32 v2, v0, v12
	v_lshrrev_b32_e32 v0, 16, v197
	v_mul_f16_e32 v8, v0, v7
	v_mul_f16_e64 v7, v197, v7
	s_delay_alu instid0(VALU_DEP_2) | instskip(NEXT) | instid1(VALU_DEP_2)
	v_fma_f16 v8, v197, v18, -v8
	v_fmac_f16_e32 v7, v0, v18
	v_lshrrev_b32_e32 v0, 16, v193
	s_delay_alu instid0(VALU_DEP_1) | instskip(SKIP_1) | instid1(VALU_DEP_2)
	v_mul_f16_e32 v10, v0, v9
	v_mul_f16_e64 v9, v193, v9
	v_fma_f16 v10, v193, v13, -v10
	s_delay_alu instid0(VALU_DEP_2) | instskip(SKIP_1) | instid1(VALU_DEP_1)
	v_fmac_f16_e32 v9, v0, v13
	v_lshrrev_b32_e32 v0, 16, v163
	v_mul_f16_e32 v12, v0, v11
	v_mul_f16_e64 v11, v163, v11
	s_delay_alu instid0(VALU_DEP_2) | instskip(NEXT) | instid1(VALU_DEP_2)
	v_fma_f16 v12, v163, v22, -v12
	v_fmac_f16_e32 v11, v0, v22
	v_pack_b32_f16 v0, v6, v2
	v_pack_b32_f16 v2, v10, v9
	ds_store_2addr_b32 v126, v0, v2 offset0:28 offset1:136
	v_pack_b32_f16 v0, v8, v7
	v_pack_b32_f16 v2, v12, v11
	ds_store_2addr_b32 v228, v0, v2 offset0:140 offset1:248
	v_lshrrev_b32_e32 v0, 16, v5
	v_lshrrev_b32_e32 v2, 16, v26
	s_delay_alu instid0(VALU_DEP_1) | instskip(SKIP_1) | instid1(VALU_DEP_2)
	v_mul_f16_e32 v6, v0, v2
	v_mul_f16_e32 v2, v5, v2
	v_fma_f16 v5, v5, v26, -v6
	s_delay_alu instid0(VALU_DEP_2) | instskip(SKIP_2) | instid1(VALU_DEP_3)
	v_fmac_f16_e32 v2, v0, v26
	v_lshrrev_b32_e32 v0, 16, v1
	v_lshrrev_b32_e32 v6, 16, v21
	v_pack_b32_f16 v2, v5, v2
	s_delay_alu instid0(VALU_DEP_2) | instskip(SKIP_1) | instid1(VALU_DEP_2)
	v_mul_f16_e32 v7, v0, v6
	v_mul_f16_e32 v6, v1, v6
	v_fma_f16 v1, v1, v21, -v7
	s_delay_alu instid0(VALU_DEP_2)
	v_fmac_f16_e32 v6, v0, v21
	v_pack_b32_f16 v0, v4, v3
	ds_store_2addr_b32 v161, v2, v0 offset0:4 offset1:112
	v_pack_b32_f16 v0, v1, v6
	ds_store_b32 v154, v0 offset:12528
	s_waitcnt lgkmcnt(0)
	s_barrier
	buffer_gl0_inv
	ds_load_2addr_b32 v[0:1], v240 offset0:88 offset1:196
	ds_load_2addr_b32 v[2:3], v138 offset0:16 offset1:124
	;; [unrolled: 1-line block ×3, first 2 shown]
	s_waitcnt lgkmcnt(1)
	v_pk_add_f16 v6, v0, v2
	s_waitcnt lgkmcnt(0)
	v_pk_add_f16 v7, v2, v4
	v_pk_add_f16 v8, v1, v3
	v_pk_add_f16 v9, v2, v4 neg_lo:[0,1] neg_hi:[0,1]
	v_pk_add_f16 v2, v3, v5
	v_pk_add_f16 v10, v3, v5 neg_lo:[0,1] neg_hi:[0,1]
	v_pk_add_f16 v6, v6, v4
	v_pk_add_f16 v11, v8, v5
	v_pk_fma_f16 v12, v7, 0.5, v0 op_sel_hi:[1,0,1] neg_lo:[1,0,0] neg_hi:[1,0,0]
	v_pk_fma_f16 v13, v2, 0.5, v1 op_sel_hi:[1,0,1] neg_lo:[1,0,0] neg_hi:[1,0,0]
	ds_load_2addr_b32 v[0:1], v241 offset0:48 offset1:156
	ds_load_2addr_b32 v[2:3], v133 offset0:104 offset1:212
	;; [unrolled: 1-line block ×3, first 2 shown]
	v_dual_mov_b32 v133, v88 :: v_dual_mov_b32 v100, v82
	s_waitcnt lgkmcnt(1)
	v_pk_add_f16 v7, v0, v2
	s_waitcnt lgkmcnt(0)
	v_pk_add_f16 v8, v2, v4
	v_pk_add_f16 v14, v1, v3
	v_pk_add_f16 v15, v2, v4 neg_lo:[0,1] neg_hi:[0,1]
	v_pk_add_f16 v2, v3, v5
	v_pk_add_f16 v16, v3, v5 neg_lo:[0,1] neg_hi:[0,1]
	v_pk_add_f16 v17, v7, v4
	v_pk_add_f16 v14, v14, v5
	v_pk_fma_f16 v18, v8, 0.5, v0 op_sel_hi:[1,0,1] neg_lo:[1,0,0] neg_hi:[1,0,0]
	v_pk_fma_f16 v19, v2, 0.5, v1 op_sel_hi:[1,0,1] neg_lo:[1,0,0] neg_hi:[1,0,0]
	ds_load_2addr_b32 v[0:1], v126 offset0:136 offset1:244
	ds_load_2addr_b32 v[2:3], v88 offset0:64 offset1:172
	ds_load_2addr_b32 v[4:5], v107 offset0:120 offset1:228
	s_waitcnt lgkmcnt(1)
	v_pk_add_f16 v7, v0, v2
	s_waitcnt lgkmcnt(0)
	v_pk_add_f16 v8, v2, v4
	v_pk_add_f16 v21, v2, v4 neg_lo:[0,1] neg_hi:[0,1]
	v_pk_add_f16 v2, v3, v5
	v_pk_add_f16 v20, v1, v3
	v_pk_add_f16 v22, v3, v5 neg_lo:[0,1] neg_hi:[0,1]
	v_pk_fma_f16 v24, v8, 0.5, v0 op_sel_hi:[1,0,1] neg_lo:[1,0,0] neg_hi:[1,0,0]
	v_pk_add_f16 v23, v7, v4
	v_pk_fma_f16 v25, v2, 0.5, v1 op_sel_hi:[1,0,1] neg_lo:[1,0,0] neg_hi:[1,0,0]
	ds_load_2addr_b32 v[0:1], v82 offset0:96 offset1:204
	ds_load_2addr_b32 v[2:3], v149 offset0:24 offset1:132
	v_pk_add_f16 v20, v20, v5
	ds_load_2addr_b32 v[4:5], v185 offset0:80 offset1:188
	s_waitcnt lgkmcnt(1)
	v_pk_add_f16 v7, v0, v2
	v_pk_add_f16 v8, v1, v3
	s_waitcnt lgkmcnt(0)
	v_pk_add_f16 v26, v2, v4
	v_pk_add_f16 v27, v2, v4 neg_lo:[0,1] neg_hi:[0,1]
	v_pk_add_f16 v28, v3, v5
	v_pk_add_f16 v29, v3, v5 neg_lo:[0,1] neg_hi:[0,1]
	v_pk_add_f16 v30, v7, v4
	v_pk_add_f16 v31, v8, v5
	ds_load_2addr_b32 v[2:3], v154 offset1:108
	ds_load_2addr_b32 v[4:5], v162 offset0:56 offset1:164
	ds_load_2addr_b32 v[7:8], v161 offset0:112 offset1:220
	s_waitcnt lgkmcnt(0)
	s_barrier
	buffer_gl0_inv
	v_pk_fma_f16 v0, v26, 0.5, v0 op_sel_hi:[1,0,1] neg_lo:[1,0,0] neg_hi:[1,0,0]
	v_pk_add_f16 v65, v2, v4
	v_pk_add_f16 v66, v4, v7
	v_pk_add_f16 v4, v4, v7 neg_lo:[0,1] neg_hi:[0,1]
	v_pk_add_f16 v32, v3, v5
	v_pk_add_f16 v34, v5, v8
	v_pk_add_f16 v5, v5, v8 neg_lo:[0,1] neg_hi:[0,1]
	v_pk_fma_f16 v2, v66, 0.5, v2 op_sel_hi:[1,0,1] neg_lo:[1,0,0] neg_hi:[1,0,0]
	v_pk_mul_f16 v4, 0x3aee, v4 op_sel_hi:[0,1]
	v_pk_add_f16 v8, v32, v8
	v_pk_add_f16 v7, v65, v7
	v_pk_fma_f16 v3, v34, 0.5, v3 op_sel_hi:[1,0,1] neg_lo:[1,0,0] neg_hi:[1,0,0]
	s_delay_alu instid0(VALU_DEP_4) | instskip(SKIP_1) | instid1(VALU_DEP_1)
	v_pk_add_f16 v32, v2, v4 op_sel:[0,1] op_sel_hi:[1,0] neg_lo:[0,1] neg_hi:[0,1]
	v_pk_add_f16 v2, v2, v4 op_sel:[0,1] op_sel_hi:[1,0]
	v_bfi_b32 v4, 0xffff, v32, v2
	v_bfi_b32 v2, 0xffff, v2, v32
	scratch_load_b32 v32, off, off offset:248 ; 4-byte Folded Reload
	s_waitcnt vmcnt(0)
	ds_store_2addr_b32 v32, v7, v4 offset1:1
	ds_store_b32 v32, v2 offset:8
	v_pk_mul_f16 v2, 0x3aee, v5 op_sel_hi:[0,1]
	s_delay_alu instid0(VALU_DEP_1) | instskip(SKIP_1) | instid1(VALU_DEP_1)
	v_pk_add_f16 v4, v3, v2 op_sel:[0,1] op_sel_hi:[1,0] neg_lo:[0,1] neg_hi:[0,1]
	v_pk_add_f16 v2, v3, v2 op_sel:[0,1] op_sel_hi:[1,0]
	v_bfi_b32 v3, 0xffff, v4, v2
	v_bfi_b32 v2, 0xffff, v2, v4
	scratch_load_b32 v4, off, off offset:252 ; 4-byte Folded Reload
	s_waitcnt vmcnt(0)
	ds_store_2addr_b32 v4, v8, v3 offset1:1
	ds_store_b32 v4, v2 offset:8
	v_pk_mul_f16 v2, 0x3aee, v9 op_sel_hi:[0,1]
	v_lshrrev_b32_e32 v8, 16, v212
	s_delay_alu instid0(VALU_DEP_2) | instskip(SKIP_1) | instid1(VALU_DEP_1)
	v_pk_add_f16 v3, v12, v2 op_sel:[0,1] op_sel_hi:[1,0] neg_lo:[0,1] neg_hi:[0,1]
	v_pk_add_f16 v2, v12, v2 op_sel:[0,1] op_sel_hi:[1,0]
	v_bfi_b32 v4, 0xffff, v3, v2
	v_bfi_b32 v2, 0xffff, v2, v3
	scratch_load_b32 v3, off, off offset:256 ; 4-byte Folded Reload
	s_waitcnt vmcnt(0)
	ds_store_2addr_b32 v3, v6, v4 offset1:1
	ds_store_b32 v3, v2 offset:8
	v_pk_mul_f16 v2, 0x3aee, v10 op_sel_hi:[0,1]
	v_lshrrev_b32_e32 v10, 16, v72
	s_delay_alu instid0(VALU_DEP_2) | instskip(SKIP_1) | instid1(VALU_DEP_1)
	v_pk_add_f16 v3, v13, v2 op_sel:[0,1] op_sel_hi:[1,0] neg_lo:[0,1] neg_hi:[0,1]
	v_pk_add_f16 v2, v13, v2 op_sel:[0,1] op_sel_hi:[1,0]
	v_bfi_b32 v4, 0xffff, v3, v2
	v_bfi_b32 v2, 0xffff, v2, v3
	scratch_load_b32 v3, off, off offset:260 ; 4-byte Folded Reload
	s_waitcnt vmcnt(0)
	ds_store_2addr_b32 v3, v11, v4 offset1:1
	ds_store_b32 v3, v2 offset:8
	v_pk_mul_f16 v2, 0x3aee, v15 op_sel_hi:[0,1]
	s_delay_alu instid0(VALU_DEP_1) | instskip(SKIP_1) | instid1(VALU_DEP_1)
	v_pk_add_f16 v3, v18, v2 op_sel:[0,1] op_sel_hi:[1,0] neg_lo:[0,1] neg_hi:[0,1]
	v_pk_add_f16 v2, v18, v2 op_sel:[0,1] op_sel_hi:[1,0]
	v_bfi_b32 v4, 0xffff, v3, v2
	v_bfi_b32 v2, 0xffff, v2, v3
	scratch_load_b32 v3, off, off offset:264 ; 4-byte Folded Reload
	s_waitcnt vmcnt(0)
	ds_store_2addr_b32 v3, v17, v4 offset1:1
	ds_store_b32 v3, v2 offset:8
	v_pk_mul_f16 v2, 0x3aee, v16 op_sel_hi:[0,1]
	s_delay_alu instid0(VALU_DEP_1) | instskip(SKIP_1) | instid1(VALU_DEP_1)
	;; [unrolled: 10-line block ×4, first 2 shown]
	v_pk_add_f16 v3, v25, v2 op_sel:[0,1] op_sel_hi:[1,0] neg_lo:[0,1] neg_hi:[0,1]
	v_pk_add_f16 v2, v25, v2 op_sel:[0,1] op_sel_hi:[1,0]
	v_bfi_b32 v4, 0xffff, v3, v2
	v_bfi_b32 v2, 0xffff, v2, v3
	scratch_load_b32 v3, off, off offset:280 ; 4-byte Folded Reload
	s_waitcnt vmcnt(0)
	ds_store_2addr_b32 v3, v20, v4 offset1:1
	ds_store_b32 v3, v2 offset:8
	v_pk_mul_f16 v2, 0x3aee, v27 op_sel_hi:[0,1]
	v_lshrrev_b32_e32 v4, 16, v211
	s_delay_alu instid0(VALU_DEP_2) | instskip(SKIP_1) | instid1(VALU_DEP_1)
	v_pk_add_f16 v3, v0, v2 op_sel:[0,1] op_sel_hi:[1,0] neg_lo:[0,1] neg_hi:[0,1]
	v_pk_add_f16 v0, v0, v2 op_sel:[0,1] op_sel_hi:[1,0]
	v_bfi_b32 v2, 0xffff, v3, v0
	v_bfi_b32 v0, 0xffff, v0, v3
	scratch_load_b32 v3, off, off offset:284 ; 4-byte Folded Reload
	s_waitcnt vmcnt(0)
	ds_store_2addr_b32 v3, v30, v2 offset1:1
	ds_store_b32 v3, v0 offset:8
	v_pk_fma_f16 v0, v28, 0.5, v1 op_sel_hi:[1,0,1] neg_lo:[1,0,0] neg_hi:[1,0,0]
	v_pk_mul_f16 v1, 0x3aee, v29 op_sel_hi:[0,1]
	s_delay_alu instid0(VALU_DEP_1) | instskip(SKIP_1) | instid1(VALU_DEP_1)
	v_pk_add_f16 v2, v0, v1 op_sel:[0,1] op_sel_hi:[1,0] neg_lo:[0,1] neg_hi:[0,1]
	v_pk_add_f16 v0, v0, v1 op_sel:[0,1] op_sel_hi:[1,0]
	v_bfi_b32 v1, 0xffff, v2, v0
	v_bfi_b32 v0, 0xffff, v0, v2
	scratch_load_b32 v2, off, off offset:276 ; 4-byte Folded Reload
	s_waitcnt vmcnt(0)
	ds_store_2addr_b32 v2, v31, v1 offset1:1
	ds_store_b32 v2, v0 offset:8
	s_waitcnt lgkmcnt(0)
	s_barrier
	buffer_gl0_inv
	ds_load_2addr_b32 v[0:1], v162 offset0:56 offset1:164
	s_waitcnt lgkmcnt(0)
	v_lshrrev_b32_e32 v2, 16, v0
	v_mul_f16_e32 v3, v4, v0
	s_delay_alu instid0(VALU_DEP_2) | instskip(NEXT) | instid1(VALU_DEP_2)
	v_mul_f16_e32 v4, v4, v2
	v_fma_f16 v5, v211, v2, -v3
	ds_load_2addr_b32 v[2:3], v161 offset0:112 offset1:220
	v_fmac_f16_e64 v4, v211, v0
	v_lshrrev_b32_e32 v0, 16, v1
	s_waitcnt lgkmcnt(0)
	v_lshrrev_b32_e32 v6, 16, v2
	v_mul_f16_e32 v7, v8, v2
	s_delay_alu instid0(VALU_DEP_2) | instskip(NEXT) | instid1(VALU_DEP_2)
	v_mul_f16_e32 v8, v8, v6
	v_fma_f16 v6, v212, v6, -v7
	v_lshrrev_b32_e32 v7, 16, v76
	s_delay_alu instid0(VALU_DEP_3) | instskip(SKIP_1) | instid1(VALU_DEP_1)
	v_fmac_f16_e64 v8, v212, v2
	v_lshrrev_b32_e32 v2, 16, v75
	v_mul_f16_e32 v11, v2, v0
	s_delay_alu instid0(VALU_DEP_1) | instskip(SKIP_2) | instid1(VALU_DEP_2)
	v_fmac_f16_e32 v11, v75, v1
	v_mul_f16_e32 v1, v2, v1
	v_lshrrev_b32_e32 v2, 16, v3
	v_fma_f16 v13, v75, v0, -v1
	ds_load_2addr_b32 v[0:1], v138 offset0:16 offset1:124
	v_mul_f16_e32 v12, v7, v2
	v_mul_f16_e32 v7, v7, v3
	s_delay_alu instid0(VALU_DEP_2) | instskip(NEXT) | instid1(VALU_DEP_2)
	v_fmac_f16_e32 v12, v76, v3
	v_fma_f16 v14, v76, v2, -v7
	v_lshrrev_b32_e32 v7, 16, v71
	s_waitcnt lgkmcnt(0)
	v_lshrrev_b32_e32 v2, 16, v0
	s_delay_alu instid0(VALU_DEP_2) | instskip(NEXT) | instid1(VALU_DEP_2)
	v_mul_f16_e32 v3, v7, v0
	v_mul_f16_e32 v15, v7, v2
	s_delay_alu instid0(VALU_DEP_2)
	v_fma_f16 v16, v71, v2, -v3
	ds_load_2addr_b32 v[2:3], v150 offset0:72 offset1:180
	v_fmac_f16_e32 v15, v71, v0
	v_lshrrev_b32_e32 v0, 16, v1
	s_waitcnt lgkmcnt(0)
	v_lshrrev_b32_e32 v7, 16, v2
	v_mul_f16_e32 v9, v10, v2
	s_delay_alu instid0(VALU_DEP_2) | instskip(NEXT) | instid1(VALU_DEP_2)
	v_mul_f16_e32 v17, v10, v7
	v_fma_f16 v18, v72, v7, -v9
	v_lshrrev_b32_e32 v7, 16, v235
	v_lshrrev_b32_e32 v10, 16, v86
	s_delay_alu instid0(VALU_DEP_4) | instskip(SKIP_1) | instid1(VALU_DEP_1)
	v_fmac_f16_e32 v17, v72, v2
	v_lshrrev_b32_e32 v2, 16, v234
	v_mul_f16_e32 v19, v2, v0
	s_delay_alu instid0(VALU_DEP_1) | instskip(SKIP_2) | instid1(VALU_DEP_2)
	v_fmac_f16_e64 v19, v234, v1
	v_mul_f16_e32 v1, v2, v1
	v_lshrrev_b32_e32 v2, 16, v3
	v_fma_f16 v21, v234, v0, -v1
	ds_load_2addr_b32 v[0:1], v147 offset0:104 offset1:212
	v_mul_f16_e32 v20, v7, v2
	v_mul_f16_e32 v7, v7, v3
	s_delay_alu instid0(VALU_DEP_2) | instskip(NEXT) | instid1(VALU_DEP_2)
	v_fmac_f16_e64 v20, v235, v3
	v_fma_f16 v22, v235, v2, -v7
	v_lshrrev_b32_e32 v7, 16, v85
	s_waitcnt lgkmcnt(0)
	v_lshrrev_b32_e32 v2, 16, v0
	s_delay_alu instid0(VALU_DEP_2) | instskip(NEXT) | instid1(VALU_DEP_2)
	v_mul_f16_e32 v3, v7, v0
	v_mul_f16_e32 v23, v7, v2
	s_delay_alu instid0(VALU_DEP_2)
	v_fma_f16 v24, v85, v2, -v3
	ds_load_2addr_b32 v[2:3], v228 offset0:32 offset1:140
	v_fmac_f16_e32 v23, v85, v0
	v_lshrrev_b32_e32 v0, 16, v1
	s_waitcnt lgkmcnt(0)
	v_lshrrev_b32_e32 v7, 16, v2
	v_mul_f16_e32 v9, v10, v2
	s_delay_alu instid0(VALU_DEP_2) | instskip(NEXT) | instid1(VALU_DEP_2)
	v_mul_f16_e32 v25, v10, v7
	v_fma_f16 v26, v86, v7, -v9
	v_lshrrev_b32_e32 v7, 16, v84
	v_lshrrev_b32_e32 v10, 16, v214
	s_delay_alu instid0(VALU_DEP_4) | instskip(SKIP_1) | instid1(VALU_DEP_1)
	v_fmac_f16_e32 v25, v86, v2
	v_lshrrev_b32_e32 v2, 16, v83
	v_mul_f16_e32 v27, v2, v0
	s_delay_alu instid0(VALU_DEP_1) | instskip(SKIP_2) | instid1(VALU_DEP_2)
	v_fmac_f16_e32 v27, v83, v1
	v_mul_f16_e32 v1, v2, v1
	v_lshrrev_b32_e32 v2, 16, v3
	v_fma_f16 v29, v83, v0, -v1
	ds_load_2addr_b32 v[0:1], v88 offset0:64 offset1:172
	v_mul_f16_e32 v28, v7, v2
	v_mul_f16_e32 v7, v7, v3
	s_delay_alu instid0(VALU_DEP_2) | instskip(NEXT) | instid1(VALU_DEP_2)
	v_fmac_f16_e32 v28, v84, v3
	v_fma_f16 v30, v84, v2, -v7
	v_lshrrev_b32_e32 v7, 16, v213
	v_sub_f16_e32 v84, v5, v6
	s_waitcnt lgkmcnt(0)
	v_lshrrev_b32_e32 v2, 16, v0
	s_delay_alu instid0(VALU_DEP_3) | instskip(NEXT) | instid1(VALU_DEP_2)
	v_mul_f16_e32 v3, v7, v0
	v_mul_f16_e32 v31, v7, v2
	s_delay_alu instid0(VALU_DEP_2)
	v_fma_f16 v32, v213, v2, -v3
	ds_load_2addr_b32 v[2:3], v107 offset0:120 offset1:228
	v_fmac_f16_e64 v31, v213, v0
	v_lshrrev_b32_e32 v0, 16, v1
	s_waitcnt lgkmcnt(0)
	v_lshrrev_b32_e32 v7, 16, v2
	v_mul_f16_e32 v9, v10, v2
	s_delay_alu instid0(VALU_DEP_2) | instskip(NEXT) | instid1(VALU_DEP_2)
	v_mul_f16_e32 v34, v10, v7
	v_fma_f16 v65, v214, v7, -v9
	v_lshrrev_b32_e32 v7, 16, v210
	v_lshrrev_b32_e32 v10, 16, v74
	s_delay_alu instid0(VALU_DEP_4) | instskip(SKIP_1) | instid1(VALU_DEP_1)
	v_fmac_f16_e64 v34, v214, v2
	v_lshrrev_b32_e32 v2, 16, v209
	v_mul_f16_e32 v66, v2, v0
	s_delay_alu instid0(VALU_DEP_1) | instskip(SKIP_2) | instid1(VALU_DEP_2)
	v_fmac_f16_e64 v66, v209, v1
	v_mul_f16_e32 v1, v2, v1
	v_lshrrev_b32_e32 v2, 16, v3
	v_fma_f16 v68, v209, v0, -v1
	ds_load_2addr_b32 v[0:1], v149 offset0:24 offset1:132
	v_mul_f16_e32 v67, v7, v2
	v_mul_f16_e32 v7, v7, v3
	s_delay_alu instid0(VALU_DEP_2) | instskip(NEXT) | instid1(VALU_DEP_2)
	v_fmac_f16_e64 v67, v210, v3
	v_fma_f16 v71, v210, v2, -v7
	v_lshrrev_b32_e32 v7, 16, v73
	s_waitcnt lgkmcnt(0)
	v_lshrrev_b32_e32 v2, 16, v0
	s_delay_alu instid0(VALU_DEP_2) | instskip(NEXT) | instid1(VALU_DEP_2)
	v_mul_f16_e32 v3, v7, v0
	v_mul_f16_e32 v72, v7, v2
	s_delay_alu instid0(VALU_DEP_2) | instskip(SKIP_3) | instid1(VALU_DEP_1)
	v_fma_f16 v75, v73, v2, -v3
	ds_load_2addr_b32 v[2:3], v185 offset0:80 offset1:188
	v_fmac_f16_e32 v72, v73, v0
	v_lshrrev_b32_e32 v0, 16, v1
	v_mul_f16_e64 v73, v208, v0
	s_delay_alu instid0(VALU_DEP_1) | instskip(SKIP_3) | instid1(VALU_DEP_2)
	v_fmac_f16_e32 v73, v69, v1
	v_mul_f16_e64 v1, v208, v1
	s_waitcnt lgkmcnt(0)
	v_lshrrev_b32_e32 v7, 16, v2
	v_fma_f16 v69, v69, v0, -v1
	ds_load_2addr_b32 v[0:1], v154 offset1:108
	v_mul_f16_e32 v9, v10, v2
	v_mul_f16_e32 v76, v10, v7
	s_delay_alu instid0(VALU_DEP_2) | instskip(SKIP_1) | instid1(VALU_DEP_3)
	v_fma_f16 v77, v74, v7, -v9
	v_mul_f16_e64 v7, v232, v3
	v_fmac_f16_e32 v76, v74, v2
	v_lshrrev_b32_e32 v2, 16, v3
	s_delay_alu instid0(VALU_DEP_1) | instskip(NEXT) | instid1(VALU_DEP_1)
	v_mul_f16_e64 v74, v232, v2
	v_fmac_f16_e32 v74, v70, v3
	s_waitcnt lgkmcnt(0)
	v_lshrrev_b32_e32 v83, 16, v0
	v_add_f16_e32 v3, v5, v6
	v_fma_f16 v70, v70, v2, -v7
	s_delay_alu instid0(VALU_DEP_3) | instskip(NEXT) | instid1(VALU_DEP_3)
	v_add_f16_e32 v2, v83, v5
	v_fmac_f16_e32 v83, -0.5, v3
	v_add_f16_e32 v3, v0, v4
	v_add_f16_e32 v5, v4, v8
	s_delay_alu instid0(VALU_DEP_4) | instskip(SKIP_1) | instid1(VALU_DEP_4)
	v_add_f16_e32 v2, v2, v6
	v_sub_f16_e32 v6, v4, v8
	v_add_f16_e32 v3, v3, v8
	s_delay_alu instid0(VALU_DEP_4) | instskip(NEXT) | instid1(VALU_DEP_2)
	v_fma_f16 v0, -0.5, v5, v0
	v_pack_b32_f16 v85, v3, v2
	s_delay_alu instid0(VALU_DEP_2) | instskip(SKIP_4) | instid1(VALU_DEP_4)
	v_fmamk_f16 v2, v84, 0xbaee, v0
	v_fmamk_f16 v3, v6, 0x3aee, v83
	v_fmac_f16_e32 v0, 0x3aee, v84
	v_fmac_f16_e32 v83, 0xbaee, v6
	v_lshrrev_b32_e32 v6, 16, v1
	v_pack_b32_f16 v86, v2, v3
	ds_load_2addr_b32 v[2:3], v240 offset0:88 offset1:196
	ds_load_2addr_b32 v[4:5], v241 offset0:48 offset1:156
	;; [unrolled: 1-line block ×4, first 2 shown]
	s_waitcnt lgkmcnt(0)
	s_barrier
	buffer_gl0_inv
	scratch_load_b32 v82, off, off offset:288 ; 4-byte Folded Reload
	v_pack_b32_f16 v0, v0, v83
	v_add_f16_e32 v83, v1, v11
	s_waitcnt vmcnt(0)
	ds_store_b32 v82, v0 offset:24
	v_add_f16_e32 v0, v11, v12
	ds_store_2addr_b32 v82, v85, v86 offset1:3
	v_fmac_f16_e32 v1, -0.5, v0
	v_sub_f16_e32 v0, v13, v14
	s_delay_alu instid0(VALU_DEP_1) | instskip(SKIP_3) | instid1(VALU_DEP_2)
	v_fmamk_f16 v84, v0, 0xbaee, v1
	v_fmac_f16_e32 v1, 0x3aee, v0
	v_add_f16_e32 v0, v13, v14
	v_add_f16_e32 v13, v6, v13
	v_fmac_f16_e32 v6, -0.5, v0
	v_sub_f16_e32 v0, v11, v12
	s_delay_alu instid0(VALU_DEP_1) | instskip(SKIP_1) | instid1(VALU_DEP_1)
	v_fmamk_f16 v11, v0, 0x3aee, v6
	v_fmac_f16_e32 v6, 0xbaee, v0
	v_pack_b32_f16 v0, v1, v6
	v_add_f16_e32 v1, v83, v12
	v_add_f16_e32 v6, v13, v14
	;; [unrolled: 1-line block ×3, first 2 shown]
	v_sub_f16_e32 v13, v15, v17
	s_delay_alu instid0(VALU_DEP_3)
	v_pack_b32_f16 v1, v1, v6
	v_pack_b32_f16 v6, v84, v11
	scratch_load_b32 v11, off, off offset:292 ; 4-byte Folded Reload
	s_waitcnt vmcnt(0)
	ds_store_2addr_b32 v11, v1, v6 offset1:3
	ds_store_b32 v11, v0 offset:24
	v_lshrrev_b32_e32 v0, 16, v2
	v_add_f16_e32 v6, v16, v18
	v_sub_f16_e32 v11, v16, v18
	s_delay_alu instid0(VALU_DEP_3) | instskip(NEXT) | instid1(VALU_DEP_3)
	v_add_f16_e32 v1, v0, v16
	v_fmac_f16_e32 v0, -0.5, v6
	v_add_f16_e32 v6, v2, v15
	v_fma_f16 v2, -0.5, v12, v2
	s_delay_alu instid0(VALU_DEP_4) | instskip(NEXT) | instid1(VALU_DEP_4)
	v_add_f16_e32 v1, v1, v18
	v_fmamk_f16 v12, v13, 0x3aee, v0
	s_delay_alu instid0(VALU_DEP_4) | instskip(SKIP_1) | instid1(VALU_DEP_2)
	v_add_f16_e32 v6, v6, v17
	v_fmac_f16_e32 v0, 0xbaee, v13
	v_pack_b32_f16 v1, v6, v1
	v_fmamk_f16 v6, v11, 0xbaee, v2
	v_fmac_f16_e32 v2, 0x3aee, v11
	s_delay_alu instid0(VALU_DEP_2)
	v_pack_b32_f16 v6, v6, v12
	scratch_load_b32 v12, off, off offset:296 ; 4-byte Folded Reload
	v_pack_b32_f16 v0, v2, v0
	v_add_f16_e32 v2, v3, v19
	s_waitcnt vmcnt(0)
	ds_store_b32 v12, v0 offset:24
	v_add_f16_e32 v0, v19, v20
	ds_store_2addr_b32 v12, v1, v6 offset1:3
	v_lshrrev_b32_e32 v1, 16, v3
	v_fmac_f16_e32 v3, -0.5, v0
	v_sub_f16_e32 v0, v21, v22
	s_delay_alu instid0(VALU_DEP_3) | instskip(NEXT) | instid1(VALU_DEP_2)
	v_add_f16_e32 v11, v1, v21
	v_fmamk_f16 v6, v0, 0xbaee, v3
	v_fmac_f16_e32 v3, 0x3aee, v0
	v_add_f16_e32 v0, v21, v22
	s_delay_alu instid0(VALU_DEP_1) | instskip(SKIP_1) | instid1(VALU_DEP_1)
	v_fmac_f16_e32 v1, -0.5, v0
	v_sub_f16_e32 v0, v19, v20
	v_fmamk_f16 v12, v0, 0x3aee, v1
	v_fmac_f16_e32 v1, 0xbaee, v0
	s_delay_alu instid0(VALU_DEP_1) | instskip(SKIP_4) | instid1(VALU_DEP_2)
	v_pack_b32_f16 v0, v3, v1
	scratch_load_b32 v3, off, off offset:300 ; 4-byte Folded Reload
	v_add_f16_e32 v1, v2, v20
	v_add_f16_e32 v2, v11, v22
	v_sub_f16_e32 v11, v23, v25
	v_pack_b32_f16 v1, v1, v2
	v_pack_b32_f16 v2, v6, v12
	s_waitcnt vmcnt(0)
	ds_store_2addr_b32 v3, v1, v2 offset1:3
	ds_store_b32 v3, v0 offset:24
	v_lshrrev_b32_e32 v0, 16, v4
	v_add_f16_e32 v2, v24, v26
	v_add_f16_e32 v6, v23, v25
	v_sub_f16_e32 v3, v24, v26
	s_delay_alu instid0(VALU_DEP_4) | instskip(NEXT) | instid1(VALU_DEP_4)
	v_add_f16_e32 v1, v0, v24
	v_fmac_f16_e32 v0, -0.5, v2
	v_add_f16_e32 v2, v4, v23
	s_delay_alu instid0(VALU_DEP_3) | instskip(NEXT) | instid1(VALU_DEP_2)
	v_add_f16_e32 v1, v1, v26
	v_add_f16_e32 v2, v2, v25
	s_delay_alu instid0(VALU_DEP_1) | instskip(SKIP_3) | instid1(VALU_DEP_3)
	v_pack_b32_f16 v1, v2, v1
	v_fma_f16 v2, -0.5, v6, v4
	v_fmamk_f16 v6, v11, 0x3aee, v0
	v_fmac_f16_e32 v0, 0xbaee, v11
	v_fmamk_f16 v4, v3, 0xbaee, v2
	v_fmac_f16_e32 v2, 0x3aee, v3
	s_delay_alu instid0(VALU_DEP_2)
	v_pack_b32_f16 v4, v4, v6
	scratch_load_b32 v6, off, off offset:304 ; 4-byte Folded Reload
	v_pack_b32_f16 v0, v2, v0
	v_add_f16_e32 v2, v5, v27
	s_waitcnt vmcnt(0)
	ds_store_b32 v6, v0 offset:24
	v_add_f16_e32 v0, v27, v28
	ds_store_2addr_b32 v6, v1, v4 offset1:3
	v_lshrrev_b32_e32 v1, 16, v5
	v_fmac_f16_e32 v5, -0.5, v0
	v_sub_f16_e32 v0, v29, v30
	s_delay_alu instid0(VALU_DEP_3) | instskip(NEXT) | instid1(VALU_DEP_2)
	v_add_f16_e32 v4, v1, v29
	v_fmamk_f16 v3, v0, 0xbaee, v5
	v_fmac_f16_e32 v5, 0x3aee, v0
	v_add_f16_e32 v0, v29, v30
	s_delay_alu instid0(VALU_DEP_1) | instskip(SKIP_1) | instid1(VALU_DEP_1)
	v_fmac_f16_e32 v1, -0.5, v0
	v_sub_f16_e32 v0, v27, v28
	v_fmamk_f16 v6, v0, 0x3aee, v1
	v_fmac_f16_e32 v1, 0xbaee, v0
	s_delay_alu instid0(VALU_DEP_1) | instskip(SKIP_4) | instid1(VALU_DEP_3)
	v_pack_b32_f16 v0, v5, v1
	v_add_f16_e32 v1, v2, v28
	v_add_f16_e32 v2, v4, v30
	;; [unrolled: 1-line block ×3, first 2 shown]
	v_sub_f16_e32 v5, v31, v34
	v_pack_b32_f16 v1, v1, v2
	v_pack_b32_f16 v2, v3, v6
	scratch_load_b32 v3, off, off offset:308 ; 4-byte Folded Reload
	s_waitcnt vmcnt(0)
	ds_store_2addr_b32 v3, v1, v2 offset1:3
	ds_store_b32 v3, v0 offset:24
	v_lshrrev_b32_e32 v0, 16, v7
	v_add_f16_e32 v2, v32, v65
	v_sub_f16_e32 v3, v32, v65
	s_delay_alu instid0(VALU_DEP_3) | instskip(NEXT) | instid1(VALU_DEP_3)
	v_add_f16_e32 v1, v0, v32
	v_fmac_f16_e32 v0, -0.5, v2
	v_add_f16_e32 v2, v7, v31
	s_delay_alu instid0(VALU_DEP_3) | instskip(NEXT) | instid1(VALU_DEP_3)
	v_add_f16_e32 v1, v1, v65
	v_fmamk_f16 v6, v5, 0x3aee, v0
	s_delay_alu instid0(VALU_DEP_3) | instskip(SKIP_1) | instid1(VALU_DEP_2)
	v_add_f16_e32 v2, v2, v34
	v_fmac_f16_e32 v0, 0xbaee, v5
	v_pack_b32_f16 v1, v2, v1
	v_fma_f16 v2, -0.5, v4, v7
	s_delay_alu instid0(VALU_DEP_1) | instskip(SKIP_1) | instid1(VALU_DEP_2)
	v_fmamk_f16 v4, v3, 0xbaee, v2
	v_fmac_f16_e32 v2, 0x3aee, v3
	v_pack_b32_f16 v4, v4, v6
	scratch_load_b32 v6, off, off offset:312 ; 4-byte Folded Reload
	v_pack_b32_f16 v0, v2, v0
	v_add_f16_e32 v2, v8, v66
	s_waitcnt vmcnt(0)
	ds_store_b32 v6, v0 offset:24
	v_add_f16_e32 v0, v66, v67
	ds_store_2addr_b32 v6, v1, v4 offset1:3
	v_lshrrev_b32_e32 v1, 16, v8
	v_fmac_f16_e32 v8, -0.5, v0
	v_sub_f16_e32 v0, v68, v71
	s_delay_alu instid0(VALU_DEP_3) | instskip(NEXT) | instid1(VALU_DEP_2)
	v_add_f16_e32 v4, v1, v68
	v_fmamk_f16 v3, v0, 0xbaee, v8
	v_fmac_f16_e32 v8, 0x3aee, v0
	v_add_f16_e32 v0, v68, v71
	s_delay_alu instid0(VALU_DEP_1) | instskip(SKIP_1) | instid1(VALU_DEP_1)
	v_fmac_f16_e32 v1, -0.5, v0
	v_sub_f16_e32 v0, v66, v67
	v_fmamk_f16 v5, v0, 0x3aee, v1
	v_fmac_f16_e32 v1, 0xbaee, v0
	s_delay_alu instid0(VALU_DEP_1) | instskip(SKIP_3) | instid1(VALU_DEP_2)
	v_pack_b32_f16 v0, v8, v1
	v_add_f16_e32 v1, v2, v67
	v_add_f16_e32 v2, v4, v71
	;; [unrolled: 1-line block ×3, first 2 shown]
	v_pack_b32_f16 v1, v1, v2
	v_pack_b32_f16 v2, v3, v5
	scratch_load_b32 v3, off, off offset:316 ; 4-byte Folded Reload
	s_waitcnt vmcnt(0)
	ds_store_2addr_b32 v3, v1, v2 offset1:3
	ds_store_b32 v3, v0 offset:24
	v_lshrrev_b32_e32 v0, 16, v9
	v_add_f16_e32 v2, v75, v77
	v_sub_f16_e32 v3, v75, v77
	v_sub_f16_e32 v5, v72, v76
	s_delay_alu instid0(VALU_DEP_4) | instskip(NEXT) | instid1(VALU_DEP_4)
	v_add_f16_e32 v1, v0, v75
	v_fmac_f16_e32 v0, -0.5, v2
	v_add_f16_e32 v2, v9, v72
	s_delay_alu instid0(VALU_DEP_3) | instskip(NEXT) | instid1(VALU_DEP_3)
	v_add_f16_e32 v1, v1, v77
	v_fmamk_f16 v6, v5, 0x3aee, v0
	s_delay_alu instid0(VALU_DEP_3) | instskip(SKIP_1) | instid1(VALU_DEP_2)
	v_add_f16_e32 v2, v2, v76
	v_fmac_f16_e32 v0, 0xbaee, v5
	v_pack_b32_f16 v1, v2, v1
	v_fma_f16 v2, -0.5, v4, v9
	s_delay_alu instid0(VALU_DEP_1) | instskip(SKIP_1) | instid1(VALU_DEP_2)
	v_fmamk_f16 v4, v3, 0xbaee, v2
	v_fmac_f16_e32 v2, 0x3aee, v3
	v_pack_b32_f16 v4, v4, v6
	scratch_load_b32 v6, off, off offset:324 ; 4-byte Folded Reload
	v_pack_b32_f16 v0, v2, v0
	v_add_f16_e32 v2, v10, v73
	s_waitcnt vmcnt(0)
	ds_store_b32 v6, v0 offset:24
	v_add_f16_e32 v0, v73, v74
	ds_store_2addr_b32 v6, v1, v4 offset1:3
	v_lshrrev_b32_e32 v1, 16, v10
	v_fmac_f16_e32 v10, -0.5, v0
	v_sub_f16_e32 v0, v69, v70
	s_delay_alu instid0(VALU_DEP_3) | instskip(NEXT) | instid1(VALU_DEP_2)
	v_add_f16_e32 v4, v1, v69
	v_fmamk_f16 v3, v0, 0xbaee, v10
	v_fmac_f16_e32 v10, 0x3aee, v0
	v_add_f16_e32 v0, v69, v70
	s_delay_alu instid0(VALU_DEP_1) | instskip(SKIP_1) | instid1(VALU_DEP_1)
	v_fmac_f16_e32 v1, -0.5, v0
	v_sub_f16_e32 v0, v73, v74
	v_fmamk_f16 v5, v0, 0x3aee, v1
	v_fmac_f16_e32 v1, 0xbaee, v0
	s_delay_alu instid0(VALU_DEP_1) | instskip(SKIP_2) | instid1(VALU_DEP_1)
	v_pack_b32_f16 v0, v10, v1
	v_add_f16_e32 v1, v2, v74
	v_add_f16_e32 v2, v4, v70
	v_pack_b32_f16 v1, v1, v2
	v_pack_b32_f16 v2, v3, v5
	scratch_load_b32 v3, off, off offset:320 ; 4-byte Folded Reload
	s_waitcnt vmcnt(0)
	ds_store_2addr_b32 v3, v1, v2 offset1:3
	ds_store_b32 v3, v0 offset:24
	s_waitcnt lgkmcnt(0)
	s_barrier
	buffer_gl0_inv
	ds_load_2addr_b32 v[65:66], v240 offset0:88 offset1:196
	s_waitcnt lgkmcnt(0)
	v_lshrrev_b32_e32 v0, 16, v66
	v_mul_f16_e32 v1, v111, v66
	s_delay_alu instid0(VALU_DEP_2) | instskip(NEXT) | instid1(VALU_DEP_2)
	v_mul_f16_e32 v72, v111, v0
	v_fma_f16 v73, v44, v0, -v1
	ds_load_2addr_b32 v[0:1], v126 offset0:136 offset1:244
	v_fmac_f16_e32 v72, v44, v66
	s_waitcnt lgkmcnt(0)
	v_lshrrev_b32_e32 v2, 16, v0
	v_mul_f16_e64 v3, v184, v0
	s_delay_alu instid0(VALU_DEP_2) | instskip(NEXT) | instid1(VALU_DEP_2)
	v_mul_f16_e64 v77, v184, v2
	v_fma_f16 v76, v45, v2, -v3
	ds_load_2addr_b32 v[2:3], v100 offset0:96 offset1:204
	v_fmac_f16_e32 v77, v45, v0
	s_waitcnt lgkmcnt(0)
	v_lshrrev_b32_e32 v4, 16, v3
	v_mul_f16_e32 v5, v119, v3
	s_delay_alu instid0(VALU_DEP_2) | instskip(NEXT) | instid1(VALU_DEP_2)
	v_mul_f16_e32 v75, v119, v4
	v_fma_f16 v74, v46, v4, -v5
	ds_load_2addr_b32 v[4:5], v138 offset0:16 offset1:124
	v_fmac_f16_e32 v75, v46, v3
	v_lshrrev_b32_e32 v3, 16, v1
	v_add_f16_e32 v15, v73, v74
	s_delay_alu instid0(VALU_DEP_3) | instskip(NEXT) | instid1(VALU_DEP_3)
	v_add_f16_e32 v14, v72, v75
	v_mul_f16_e32 v68, v98, v3
	s_delay_alu instid0(VALU_DEP_1) | instskip(SKIP_3) | instid1(VALU_DEP_2)
	v_fmac_f16_e32 v68, v53, v1
	s_waitcnt lgkmcnt(0)
	v_lshrrev_b32_e32 v6, 16, v4
	v_mul_f16_e64 v7, v134, v4
	v_mul_f16_e64 v85, v134, v6
	s_delay_alu instid0(VALU_DEP_2) | instskip(SKIP_1) | instid1(VALU_DEP_3)
	v_fma_f16 v83, v47, v6, -v7
	v_lshrrev_b32_e32 v6, 16, v5
	v_fmac_f16_e32 v85, v47, v4
	v_mul_f16_e32 v4, v98, v1
	ds_load_2addr_b32 v[0:1], v241 offset0:48 offset1:156
	v_mul_f16_e64 v69, v177, v6
	v_fma_f16 v53, v53, v3, -v4
	ds_load_2addr_b32 v[3:4], v162 offset0:56 offset1:164
	v_fmac_f16_e32 v69, v55, v5
	v_mul_f16_e64 v5, v177, v5
	s_delay_alu instid0(VALU_DEP_1) | instskip(SKIP_4) | instid1(VALU_DEP_2)
	v_fma_f16 v55, v55, v6, -v5
	v_lshrrev_b32_e32 v5, 16, v144
	s_waitcnt lgkmcnt(1)
	v_lshrrev_b32_e32 v7, 16, v0
	v_mul_f16_e32 v8, v115, v0
	v_mul_f16_e32 v66, v115, v7
	s_waitcnt lgkmcnt(0)
	v_lshrrev_b32_e32 v6, 16, v4
	s_delay_alu instid0(VALU_DEP_3)
	v_fma_f16 v67, v52, v7, -v8
	v_lshrrev_b32_e32 v7, 16, v3
	v_mul_f16_e32 v8, v112, v3
	v_fmac_f16_e32 v66, v52, v0
	v_lshrrev_b32_e32 v0, 16, v1
	v_mul_f16_e64 v46, v139, v6
	v_mul_f16_e32 v71, v112, v7
	v_fma_f16 v70, v54, v7, -v8
	v_mul_f16_e64 v7, v139, v4
	v_mul_f16_e64 v44, v140, v0
	v_fmac_f16_e64 v46, v145, v4
	v_fmac_f16_e32 v71, v54, v3
	v_lshrrev_b32_e32 v3, 16, v2
	v_fma_f16 v47, v145, v6, -v7
	v_fmac_f16_e64 v44, v143, v1
	v_mul_f16_e64 v1, v140, v1
	v_lshrrev_b32_e32 v6, 16, v146
	v_mul_f16_e32 v45, v5, v3
	s_delay_alu instid0(VALU_DEP_3) | instskip(SKIP_3) | instid1(VALU_DEP_1)
	v_fma_f16 v4, v143, v0, -v1
	ds_load_2addr_b32 v[0:1], v147 offset0:104 offset1:212
	v_fmac_f16_e64 v45, v144, v2
	v_mul_f16_e32 v2, v5, v2
	v_fma_f16 v5, v144, v3, -v2
	s_waitcnt lgkmcnt(0)
	v_lshrrev_b32_e32 v2, 16, v0
	v_mul_f16_e32 v3, v6, v0
	s_delay_alu instid0(VALU_DEP_2) | instskip(NEXT) | instid1(VALU_DEP_2)
	v_mul_f16_e32 v52, v6, v2
	v_fma_f16 v6, v146, v2, -v3
	v_mul_f16_e64 v2, v252, v1
	s_delay_alu instid0(VALU_DEP_3) | instskip(SKIP_1) | instid1(VALU_DEP_1)
	v_fmac_f16_e64 v52, v146, v0
	v_lshrrev_b32_e32 v0, 16, v1
	v_mul_f16_e64 v98, v252, v0
	s_delay_alu instid0(VALU_DEP_4) | instskip(NEXT) | instid1(VALU_DEP_2)
	v_fma_f16 v86, v78, v0, -v2
	v_fmac_f16_e32 v98, v78, v1
	ds_load_2addr_b32 v[0:1], v149 offset0:24 offset1:132
	v_add_f16_e32 v15, v15, v86
	v_add_f16_e32 v14, v14, v98
	s_waitcnt lgkmcnt(0)
	v_lshrrev_b32_e32 v2, 16, v0
	v_mul_f16_e32 v3, v93, v0
	s_delay_alu instid0(VALU_DEP_2) | instskip(NEXT) | instid1(VALU_DEP_2)
	v_mul_f16_e32 v111, v93, v2
	v_fma_f16 v107, v79, v2, -v3
	ds_load_2addr_b32 v[2:3], v161 offset0:112 offset1:220
	v_fmac_f16_e32 v111, v79, v0
	v_sub_f16_e32 v20, v83, v107
	s_delay_alu instid0(VALU_DEP_2) | instskip(SKIP_3) | instid1(VALU_DEP_2)
	v_sub_f16_e32 v28, v85, v111
	s_waitcnt lgkmcnt(0)
	v_lshrrev_b32_e32 v7, 16, v3
	v_mul_f16_e64 v8, v249, v3
	v_mul_f16_e64 v93, v249, v7
	s_delay_alu instid0(VALU_DEP_2)
	v_fma_f16 v88, v80, v7, -v8
	ds_load_2addr_b32 v[7:8], v228 offset0:32 offset1:140
	v_fmac_f16_e32 v93, v80, v3
	v_lshrrev_b32_e32 v3, 16, v1
	v_sub_f16_e32 v13, v86, v88
	v_add_f16_e32 v15, v15, v88
	s_delay_alu instid0(VALU_DEP_4) | instskip(NEXT) | instid1(VALU_DEP_4)
	v_sub_f16_e32 v12, v98, v93
	v_mul_f16_e32 v79, v118, v3
	v_add_f16_e32 v16, v14, v93
	s_delay_alu instid0(VALU_DEP_2) | instskip(SKIP_3) | instid1(VALU_DEP_2)
	v_fmac_f16_e32 v79, v37, v1
	s_waitcnt lgkmcnt(0)
	v_lshrrev_b32_e32 v9, 16, v7
	v_mul_f16_e32 v10, v97, v7
	v_mul_f16_e32 v112, v97, v9
	s_delay_alu instid0(VALU_DEP_2) | instskip(SKIP_2) | instid1(VALU_DEP_4)
	v_fma_f16 v97, v81, v9, -v10
	v_lshrrev_b32_e32 v9, 16, v8
	v_mul_f16_e32 v10, v95, v8
	v_fmac_f16_e32 v112, v81, v7
	v_mul_f16_e32 v7, v118, v1
	ds_load_2addr_b32 v[0:1], v133 offset0:64 offset1:172
	v_mul_f16_e32 v82, v95, v9
	v_sub_f16_e32 v18, v76, v97
	v_sub_f16_e32 v22, v77, v112
	v_fma_f16 v54, v37, v3, -v7
	v_add_f16_e32 v30, v77, v112
	v_fmac_f16_e32 v82, v39, v8
	v_fma_f16 v39, v39, v9, -v10
	v_add_f16_e32 v31, v76, v97
	v_sub_f16_e32 v32, v107, v97
	s_waitcnt lgkmcnt(0)
	v_lshrrev_b32_e32 v8, 16, v0
	v_mul_f16_e64 v11, v253, v0
	s_delay_alu instid0(VALU_DEP_2) | instskip(NEXT) | instid1(VALU_DEP_2)
	v_mul_f16_e64 v81, v253, v8
	v_fma_f16 v78, v36, v8, -v11
	ds_load_2addr_b32 v[7:8], v150 offset0:72 offset1:180
	v_fmac_f16_e32 v81, v36, v0
	v_lshrrev_b32_e32 v0, 16, v1
	s_delay_alu instid0(VALU_DEP_1) | instskip(NEXT) | instid1(VALU_DEP_1)
	v_mul_f16_e64 v24, v222, v0
	v_fmac_f16_e64 v24, v201, v1
	v_mul_f16_e64 v1, v222, v1
	s_waitcnt lgkmcnt(0)
	v_lshrrev_b32_e32 v3, 16, v7
	v_mul_f16_e32 v11, v87, v7
	s_delay_alu instid0(VALU_DEP_3)
	v_fma_f16 v26, v201, v0, -v1
	ds_load_2addr_b32 v[0:1], v132 offset0:120 offset1:228
	v_lshrrev_b32_e32 v9, 16, v8
	v_mul_f16_e32 v84, v87, v3
	v_fma_f16 v80, v38, v3, -v11
	v_lshrrev_b32_e32 v3, 16, v2
	v_mul_f16_e64 v10, v206, v8
	v_mul_f16_e64 v25, v206, v9
	v_fmac_f16_e32 v84, v38, v7
	v_lshrrev_b32_e32 v7, 16, v202
	s_delay_alu instid0(VALU_DEP_4) | instskip(NEXT) | instid1(VALU_DEP_4)
	v_fma_f16 v36, v203, v9, -v10
	v_fmac_f16_e64 v25, v203, v8
	v_lshrrev_b32_e32 v8, 16, v204
	s_delay_alu instid0(VALU_DEP_4) | instskip(NEXT) | instid1(VALU_DEP_1)
	v_mul_f16_e32 v27, v7, v3
	v_fmac_f16_e64 v27, v202, v2
	v_mul_f16_e32 v2, v7, v2
	s_delay_alu instid0(VALU_DEP_1) | instskip(SKIP_3) | instid1(VALU_DEP_2)
	v_fma_f16 v7, v202, v3, -v2
	s_waitcnt lgkmcnt(0)
	v_lshrrev_b32_e32 v2, 16, v0
	v_mul_f16_e32 v3, v8, v0
	v_mul_f16_e32 v37, v8, v2
	s_delay_alu instid0(VALU_DEP_2) | instskip(SKIP_1) | instid1(VALU_DEP_3)
	v_fma_f16 v2, v204, v2, -v3
	v_mul_f16_e64 v3, v130, v1
	v_fmac_f16_e64 v37, v204, v0
	v_lshrrev_b32_e32 v0, 16, v1
	s_delay_alu instid0(VALU_DEP_1) | instskip(NEXT) | instid1(VALU_DEP_4)
	v_mul_f16_e64 v87, v130, v0
	v_fma_f16 v38, v108, v0, -v3
	v_sub_f16_e32 v0, v77, v85
	s_delay_alu instid0(VALU_DEP_3) | instskip(SKIP_1) | instid1(VALU_DEP_4)
	v_fmac_f16_e32 v87, v108, v1
	v_sub_f16_e32 v1, v112, v111
	v_sub_f16_e64 v134, v74, v38
	v_add_f16_e32 v15, v15, v38
	s_delay_alu instid0(VALU_DEP_4) | instskip(NEXT) | instid1(VALU_DEP_4)
	v_sub_f16_e64 v130, v75, v87
	v_add_f16_e32 v3, v0, v1
	v_sub_f16_e32 v0, v76, v83
	v_sub_f16_e32 v1, v97, v107
	v_add_f16_e64 v164, v16, v87
	s_delay_alu instid0(VALU_DEP_2) | instskip(SKIP_2) | instid1(VALU_DEP_1)
	v_add_f16_e32 v10, v0, v1
	v_sub_f16_e32 v0, v75, v98
	v_sub_f16_e32 v1, v87, v93
	v_add_f16_e32 v11, v0, v1
	v_sub_f16_e32 v0, v74, v86
	v_sub_f16_e32 v1, v38, v88
	s_delay_alu instid0(VALU_DEP_1) | instskip(SKIP_1) | instid1(VALU_DEP_1)
	v_add_f16_e32 v119, v0, v1
	v_add_f16_e32 v0, v98, v93
	v_fma_f16 v95, -0.5, v0, v72
	v_add_f16_e32 v0, v86, v88
	s_delay_alu instid0(VALU_DEP_2) | instskip(NEXT) | instid1(VALU_DEP_2)
	v_fma_f16 v1, 0xbb9c, v134, v95
	v_fma_f16 v108, -0.5, v0, v73
	v_fmac_f16_e64 v95, 0x3b9c, v134
	s_delay_alu instid0(VALU_DEP_3) | instskip(NEXT) | instid1(VALU_DEP_3)
	v_fmac_f16_e32 v1, 0xb8b4, v13
	v_fma_f16 v0, 0x3b9c, v130, v108
	v_fmac_f16_e64 v108, 0xbb9c, v130
	s_delay_alu instid0(VALU_DEP_4) | instskip(NEXT) | instid1(VALU_DEP_4)
	v_fmac_f16_e32 v95, 0x38b4, v13
	v_fmac_f16_e32 v1, 0x34f2, v11
	s_delay_alu instid0(VALU_DEP_4) | instskip(NEXT) | instid1(VALU_DEP_4)
	v_fmac_f16_e32 v0, 0x38b4, v12
	v_fmac_f16_e32 v108, 0xb8b4, v12
	s_delay_alu instid0(VALU_DEP_4) | instskip(NEXT) | instid1(VALU_DEP_3)
	v_fmac_f16_e32 v95, 0x34f2, v11
	v_fmac_f16_e32 v0, 0x34f2, v119
	s_delay_alu instid0(VALU_DEP_3) | instskip(NEXT) | instid1(VALU_DEP_2)
	v_fmac_f16_e32 v108, 0x34f2, v119
	v_mul_f16_e64 v139, 0xb8b4, v0
	v_mul_f16_e64 v143, 0x3a79, v0
	s_delay_alu instid0(VALU_DEP_2) | instskip(NEXT) | instid1(VALU_DEP_2)
	v_fmac_f16_e64 v139, 0x3a79, v1
	v_fmac_f16_e64 v143, 0x38b4, v1
	ds_load_2addr_b32 v[0:1], v154 offset1:108
	s_waitcnt lgkmcnt(0)
	v_lshrrev_b32_e32 v140, 16, v0
	v_add_f16_e32 v8, v0, v77
	s_delay_alu instid0(VALU_DEP_2) | instskip(NEXT) | instid1(VALU_DEP_2)
	v_add_f16_e64 v9, v140, v76
	v_add_f16_e32 v8, v8, v85
	s_delay_alu instid0(VALU_DEP_2) | instskip(NEXT) | instid1(VALU_DEP_2)
	v_add_f16_e32 v9, v9, v83
	v_add_f16_e32 v8, v8, v111
	s_delay_alu instid0(VALU_DEP_2) | instskip(NEXT) | instid1(VALU_DEP_2)
	v_add_f16_e32 v9, v9, v107
	v_add_f16_e32 v14, v8, v112
	s_delay_alu instid0(VALU_DEP_2) | instskip(NEXT) | instid1(VALU_DEP_2)
	v_add_f16_e64 v163, v9, v97
	v_add_f16_e64 v8, v14, v164
	v_sub_f16_e64 v11, v14, v164
	s_delay_alu instid0(VALU_DEP_3) | instskip(NEXT) | instid1(VALU_DEP_1)
	v_add_f16_e64 v9, v163, v15
	v_pack_b32_f16 v16, v8, v9
	v_add_f16_e32 v8, v85, v111
	s_delay_alu instid0(VALU_DEP_1) | instskip(SKIP_2) | instid1(VALU_DEP_3)
	v_fma_f16 v17, -0.5, v8, v0
	v_add_f16_e32 v8, v83, v107
	v_fma_f16 v0, -0.5, v30, v0
	v_fmamk_f16 v19, v18, 0xbb9c, v17
	s_delay_alu instid0(VALU_DEP_3) | instskip(NEXT) | instid1(VALU_DEP_3)
	v_fma_f16 v21, -0.5, v8, v140
	v_fmamk_f16 v30, v20, 0x3b9c, v0
	v_fmac_f16_e32 v0, 0xbb9c, v20
	v_fmac_f16_e64 v140, -0.5, v31
	v_fmac_f16_e32 v19, 0xb8b4, v20
	v_fmamk_f16 v23, v22, 0x3b9c, v21
	v_fmac_f16_e32 v30, 0xb8b4, v18
	v_fmac_f16_e32 v0, 0x38b4, v18
	v_add_f16_e32 v31, v75, v87
	v_fmac_f16_e32 v19, 0x34f2, v3
	v_fmac_f16_e32 v23, 0x38b4, v28
	v_fma_f16 v34, 0xbb9c, v28, v140
	v_fmac_f16_e64 v140, 0x3b9c, v28
	v_fmac_f16_e32 v72, -0.5, v31
	v_add_f16_e64 v8, v19, v139
	v_fmac_f16_e32 v23, 0x34f2, v10
	v_fmac_f16_e32 v34, 0x38b4, v22
	v_fmac_f16_e64 v140, 0xb8b4, v22
	v_sub_f16_e32 v31, v88, v38
	v_fmac_f16_e32 v17, 0x3b9c, v18
	v_add_f16_e64 v9, v23, v143
	v_fmac_f16_e32 v21, 0xbb9c, v22
	v_add_f16_e32 v18, v67, v70
	v_sub_f16_e32 v22, v78, v80
	v_fmac_f16_e32 v17, 0x38b4, v20
	v_pack_b32_f16 v29, v8, v9
	ds_load_2addr_b32 v[8:9], v185 offset0:80 offset1:188
	s_waitcnt lgkmcnt(0)
	s_barrier
	buffer_gl0_inv
	ds_store_2addr_b32 v217, v16, v29 offset1:9
	v_sub_f16_e32 v16, v85, v77
	v_sub_f16_e32 v29, v111, v112
	v_fmac_f16_e32 v21, 0xb8b4, v28
	v_fmac_f16_e32 v17, 0x34f2, v3
	v_mul_f16_e32 v3, 0xb8b4, v108
	v_sub_f16_e32 v28, v81, v84
	v_add_f16_e32 v16, v16, v29
	v_sub_f16_e32 v29, v83, v76
	v_fmac_f16_e32 v21, 0x34f2, v10
	v_mul_f16_e32 v10, 0xba79, v108
	v_fmac_f16_e32 v3, 0xba79, v95
	v_fmac_f16_e32 v30, 0x34f2, v16
	;; [unrolled: 1-line block ×3, first 2 shown]
	v_add_f16_e32 v16, v29, v32
	v_sub_f16_e32 v29, v98, v75
	v_sub_f16_e32 v32, v93, v87
	v_fmac_f16_e32 v10, 0x38b4, v95
	v_add_f16_e32 v18, v18, v78
	v_fmac_f16_e32 v34, 0x34f2, v16
	v_fmac_f16_e64 v140, 0x34f2, v16
	v_add_f16_e32 v16, v29, v32
	v_add_f16_e32 v29, v74, v38
	v_fmamk_f16 v32, v13, 0x3b9c, v72
	v_fmac_f16_e32 v72, 0xbb9c, v13
	v_add_f16_e32 v13, v17, v3
	v_add_f16_e32 v14, v21, v10
	v_fmac_f16_e32 v73, -0.5, v29
	v_sub_f16_e32 v29, v86, v74
	v_fmac_f16_e64 v32, 0xb8b4, v134
	v_fmac_f16_e64 v72, 0x38b4, v134
	v_pack_b32_f16 v13, v13, v14
	v_sub_f16_e32 v3, v17, v3
	v_sub_f16_e32 v10, v21, v10
	v_fmac_f16_e32 v32, 0x34f2, v16
	v_fmac_f16_e32 v72, 0x34f2, v16
	v_add_f16_e32 v16, v29, v31
	v_fmamk_f16 v29, v12, 0xbb9c, v73
	v_fmac_f16_e32 v73, 0x3b9c, v12
	v_sub_f16_e64 v12, v163, v15
	v_pack_b32_f16 v3, v3, v10
	v_lshrrev_b32_e32 v10, 16, v207
	v_fmac_f16_e64 v29, 0x38b4, v130
	v_fmac_f16_e64 v73, 0xb8b4, v130
	v_pack_b32_f16 v11, v11, v12
	v_add_f16_e32 v15, v66, v71
	v_sub_f16_e32 v21, v53, v39
	v_fmac_f16_e32 v29, 0x34f2, v16
	v_fmac_f16_e32 v73, 0x34f2, v16
	ds_store_2addr_b32 v217, v13, v11 offset0:36 offset1:45
	v_sub_f16_e64 v11, v19, v139
	v_sub_f16_e64 v13, v23, v143
	v_mul_f16_e32 v16, 0xbb9c, v29
	v_mul_f16_e32 v29, 0x34f2, v29
	;; [unrolled: 1-line block ×3, first 2 shown]
	v_add_f16_e32 v15, v15, v81
	v_pack_b32_f16 v11, v11, v13
	v_fmac_f16_e32 v16, 0x34f2, v32
	v_fmac_f16_e32 v29, 0x3b9c, v32
	v_mul_f16_e32 v32, 0xb4f2, v73
	v_fmac_f16_e32 v31, 0xb4f2, v72
	v_sub_f16_e32 v13, v79, v82
	v_sub_f16_e32 v12, v30, v16
	;; [unrolled: 1-line block ×3, first 2 shown]
	v_fmac_f16_e32 v32, 0x3b9c, v72
	v_add_f16_e32 v38, v30, v16
	v_add_f16_e32 v72, v34, v29
	;; [unrolled: 1-line block ×3, first 2 shown]
	v_pack_b32_f16 v12, v12, v14
	v_add_f16_e64 v73, v140, v32
	v_add_f16_e32 v18, v18, v80
	v_pack_b32_f16 v38, v38, v72
	v_add_f16_e32 v72, v0, v31
	ds_store_2addr_b32 v217, v11, v12 offset0:54 offset1:63
	v_sub_f16_e32 v0, v0, v31
	v_sub_f16_e64 v11, v140, v32
	v_add_f16_e32 v12, v1, v68
	v_pack_b32_f16 v72, v72, v73
	s_delay_alu instid0(VALU_DEP_3)
	v_pack_b32_f16 v0, v0, v11
	v_lshrrev_b32_e32 v11, 16, v1
	ds_store_2addr_b32 v217, v38, v72 offset0:18 offset1:27
	v_sub_f16_e32 v38, v82, v79
	v_add_f16_e32 v12, v12, v69
	ds_store_2addr_b32 v217, v0, v3 offset0:72 offset1:81
	v_lshrrev_b32_e32 v0, 16, v8
	v_mul_f16_e32 v3, v10, v8
	v_sub_f16_e32 v72, v39, v54
	v_add_f16_e32 v12, v12, v79
	s_delay_alu instid0(VALU_DEP_4) | instskip(NEXT) | instid1(VALU_DEP_4)
	v_mul_f16_e32 v10, v10, v0
	v_fma_f16 v0, v207, v0, -v3
	v_add_f16_e32 v3, v69, v79
	s_delay_alu instid0(VALU_DEP_4) | instskip(NEXT) | instid1(VALU_DEP_4)
	v_add_f16_e32 v12, v12, v82
	v_fmac_f16_e64 v10, v207, v8
	v_add_f16_e32 v8, v68, v82
	s_delay_alu instid0(VALU_DEP_4)
	v_fma_f16 v3, -0.5, v3, v1
	v_add_f16_e32 v17, v70, v0
	v_sub_f16_e32 v19, v80, v0
	v_add_f16_e32 v14, v71, v10
	v_fmac_f16_e32 v1, -0.5, v8
	v_sub_f16_e32 v8, v69, v68
	v_sub_f16_e32 v16, v84, v10
	;; [unrolled: 1-line block ×4, first 2 shown]
	v_fmamk_f16 v75, v21, 0xbb9c, v3
	v_add_f16_e32 v8, v8, v13
	v_add_f16_e32 v13, v81, v84
	v_fmac_f16_e32 v3, 0x3b9c, v21
	s_delay_alu instid0(VALU_DEP_2) | instskip(SKIP_3) | instid1(VALU_DEP_3)
	v_fma_f16 v13, -0.5, v13, v66
	v_fmac_f16_e32 v66, -0.5, v14
	v_sub_f16_e32 v14, v81, v71
	v_sub_f16_e32 v71, v71, v81
	v_fmamk_f16 v23, v22, 0x3b9c, v66
	s_delay_alu instid0(VALU_DEP_3) | instskip(SKIP_2) | instid1(VALU_DEP_4)
	v_add_f16_e32 v14, v14, v16
	v_add_f16_e32 v16, v78, v80
	v_fmac_f16_e32 v66, 0xbb9c, v22
	v_fmac_f16_e32 v23, 0xb8b4, v31
	s_delay_alu instid0(VALU_DEP_3)
	v_fma_f16 v16, -0.5, v16, v67
	v_fmac_f16_e32 v67, -0.5, v17
	v_sub_f16_e32 v17, v78, v70
	v_fmac_f16_e32 v66, 0x38b4, v31
	v_sub_f16_e32 v70, v70, v78
	v_fmac_f16_e32 v23, 0x34f2, v14
	v_fmamk_f16 v29, v28, 0xbb9c, v67
	v_fmac_f16_e32 v67, 0x3b9c, v28
	v_add_f16_e32 v17, v17, v19
	v_sub_f16_e32 v19, v55, v54
	v_fmac_f16_e32 v66, 0x34f2, v14
	v_fmac_f16_e32 v29, 0x38b4, v30
	v_fmac_f16_e32 v67, 0xb8b4, v30
	s_delay_alu instid0(VALU_DEP_4) | instskip(SKIP_2) | instid1(VALU_DEP_4)
	v_fmamk_f16 v20, v19, 0x3b9c, v1
	v_fmac_f16_e32 v1, 0xbb9c, v19
	v_fmac_f16_e32 v75, 0xb8b4, v19
	;; [unrolled: 1-line block ×7, first 2 shown]
	v_mul_f16_e32 v32, 0xbb9c, v67
	v_mul_f16_e32 v17, 0xb4f2, v67
	v_fmac_f16_e32 v20, 0x34f2, v8
	v_fmac_f16_e32 v1, 0x34f2, v8
	v_mul_f16_e32 v14, 0x34f2, v29
	v_fmac_f16_e32 v32, 0xb4f2, v66
	v_fmac_f16_e32 v17, 0x3b9c, v66
	v_sub_f16_e32 v19, v5, v2
	s_delay_alu instid0(VALU_DEP_4) | instskip(NEXT) | instid1(VALU_DEP_4)
	v_fmac_f16_e32 v14, 0x3b9c, v23
	v_add_f16_e32 v34, v1, v32
	v_sub_f16_e32 v1, v1, v32
	v_sub_f16_e32 v32, v68, v69
	s_delay_alu instid0(VALU_DEP_1) | instskip(SKIP_3) | instid1(VALU_DEP_4)
	v_add_f16_e32 v32, v32, v38
	v_sub_f16_e32 v38, v68, v82
	v_sub_f16_e32 v68, v69, v79
	;; [unrolled: 1-line block ×3, first 2 shown]
	v_fmac_f16_e32 v75, 0x34f2, v32
	v_fmac_f16_e32 v3, 0x34f2, v32
	v_sub_f16_e32 v32, v45, v52
	s_delay_alu instid0(VALU_DEP_4) | instskip(SKIP_2) | instid1(VALU_DEP_2)
	v_add_f16_e32 v69, v69, v72
	v_sub_f16_e32 v72, v10, v84
	v_add_f16_e32 v10, v15, v10
	v_add_f16_e32 v15, v71, v72
	v_sub_f16_e32 v71, v0, v80
	v_add_f16_e32 v0, v18, v0
	s_delay_alu instid0(VALU_DEP_4) | instskip(SKIP_1) | instid1(VALU_DEP_4)
	v_add_f16_e32 v73, v12, v10
	v_sub_f16_e32 v10, v12, v10
	v_add_f16_e32 v18, v70, v71
	v_fmamk_f16 v70, v30, 0x3b9c, v16
	v_fmamk_f16 v71, v31, 0xbb9c, v13
	v_fmac_f16_e32 v16, 0xbb9c, v30
	v_fmac_f16_e32 v13, 0x3b9c, v31
	s_delay_alu instid0(VALU_DEP_4) | instskip(NEXT) | instid1(VALU_DEP_4)
	v_fmac_f16_e32 v70, 0x38b4, v28
	v_fmac_f16_e32 v71, 0xb8b4, v22
	s_delay_alu instid0(VALU_DEP_4) | instskip(NEXT) | instid1(VALU_DEP_4)
	v_fmac_f16_e32 v16, 0xb8b4, v28
	v_fmac_f16_e32 v13, 0x38b4, v22
	v_sub_f16_e32 v22, v24, v25
	v_fmac_f16_e32 v70, 0x34f2, v18
	v_fmac_f16_e32 v71, 0x34f2, v15
	;; [unrolled: 1-line block ×4, first 2 shown]
	s_delay_alu instid0(VALU_DEP_4) | instskip(SKIP_1) | instid1(VALU_DEP_4)
	v_mul_f16_e32 v72, 0xb8b4, v70
	v_mul_f16_e32 v70, 0x3a79, v70
	;; [unrolled: 1-line block ×4, first 2 shown]
	s_delay_alu instid0(VALU_DEP_4) | instskip(NEXT) | instid1(VALU_DEP_4)
	v_fmac_f16_e32 v72, 0x3a79, v71
	v_fmac_f16_e32 v70, 0x38b4, v71
	v_add_f16_e32 v71, v11, v53
	v_fmac_f16_e32 v15, 0xba79, v13
	v_fmac_f16_e32 v16, 0x38b4, v13
	v_add_f16_e32 v77, v75, v72
	s_delay_alu instid0(VALU_DEP_4) | instskip(NEXT) | instid1(VALU_DEP_4)
	v_add_f16_e32 v71, v71, v55
	v_add_f16_e32 v12, v3, v15
	s_delay_alu instid0(VALU_DEP_2) | instskip(NEXT) | instid1(VALU_DEP_1)
	v_add_f16_e32 v71, v71, v54
	v_add_f16_e32 v71, v71, v39
	s_delay_alu instid0(VALU_DEP_1) | instskip(SKIP_1) | instid1(VALU_DEP_2)
	v_add_f16_e32 v74, v71, v0
	v_sub_f16_e32 v0, v71, v0
	v_pack_b32_f16 v73, v73, v74
	v_add_f16_e32 v74, v55, v54
	s_delay_alu instid0(VALU_DEP_3) | instskip(NEXT) | instid1(VALU_DEP_2)
	v_pack_b32_f16 v0, v10, v0
	v_fma_f16 v74, -0.5, v74, v11
	s_delay_alu instid0(VALU_DEP_1) | instskip(SKIP_1) | instid1(VALU_DEP_2)
	v_fmamk_f16 v76, v38, 0x3b9c, v74
	v_fmac_f16_e32 v74, 0xbb9c, v38
	v_fmac_f16_e32 v76, 0x38b4, v68
	s_delay_alu instid0(VALU_DEP_2) | instskip(NEXT) | instid1(VALU_DEP_2)
	v_fmac_f16_e32 v74, 0xb8b4, v68
	v_fmac_f16_e32 v76, 0x34f2, v69
	s_delay_alu instid0(VALU_DEP_2) | instskip(NEXT) | instid1(VALU_DEP_2)
	v_fmac_f16_e32 v74, 0x34f2, v69
	v_add_f16_e32 v78, v76, v70
	s_delay_alu instid0(VALU_DEP_2) | instskip(SKIP_1) | instid1(VALU_DEP_3)
	v_add_f16_e32 v13, v74, v16
	v_sub_f16_e32 v10, v76, v70
	v_pack_b32_f16 v77, v77, v78
	s_delay_alu instid0(VALU_DEP_3)
	v_pack_b32_f16 v12, v12, v13
	v_add_f16_e32 v13, v44, v46
	ds_store_2addr_b32 v216, v73, v77 offset1:9
	v_add_f16_e32 v73, v53, v39
	v_sub_f16_e32 v53, v55, v53
	v_sub_f16_e32 v39, v54, v39
	ds_store_2addr_b32 v216, v12, v0 offset0:36 offset1:45
	v_sub_f16_e32 v0, v75, v72
	v_fmac_f16_e32 v11, -0.5, v73
	v_add_f16_e32 v13, v13, v24
	v_add_f16_e32 v8, v53, v39
	s_delay_alu instid0(VALU_DEP_4) | instskip(NEXT) | instid1(VALU_DEP_4)
	v_pack_b32_f16 v0, v0, v10
	v_fmamk_f16 v39, v68, 0xbb9c, v11
	v_fmac_f16_e32 v11, 0x3b9c, v68
	v_add_f16_e32 v10, v65, v45
	v_add_f16_e32 v13, v13, v25
	s_delay_alu instid0(VALU_DEP_4) | instskip(NEXT) | instid1(VALU_DEP_4)
	v_fmac_f16_e32 v39, 0x38b4, v38
	v_fmac_f16_e32 v11, 0xb8b4, v38
	s_delay_alu instid0(VALU_DEP_4) | instskip(SKIP_1) | instid1(VALU_DEP_4)
	v_add_f16_e32 v10, v10, v52
	v_sub_f16_e32 v38, v2, v7
	v_fmac_f16_e32 v39, 0x34f2, v8
	s_delay_alu instid0(VALU_DEP_4) | instskip(SKIP_2) | instid1(VALU_DEP_4)
	v_fmac_f16_e32 v11, 0x34f2, v8
	v_mul_f16_e32 v8, 0xbb9c, v29
	v_add_f16_e32 v10, v10, v27
	v_sub_f16_e32 v12, v39, v14
	v_add_f16_e32 v29, v39, v14
	s_delay_alu instid0(VALU_DEP_4) | instskip(NEXT) | instid1(VALU_DEP_4)
	v_fmac_f16_e32 v8, 0x34f2, v23
	v_add_f16_e32 v10, v10, v37
	s_delay_alu instid0(VALU_DEP_2) | instskip(SKIP_2) | instid1(VALU_DEP_3)
	v_add_f16_e32 v23, v20, v8
	v_sub_f16_e32 v8, v20, v8
	v_sub_f16_e32 v20, v26, v36
	v_pack_b32_f16 v23, v23, v29
	s_delay_alu instid0(VALU_DEP_3)
	v_pack_b32_f16 v8, v8, v12
	v_add_f16_e32 v29, v11, v17
	ds_store_2addr_b32 v216, v0, v8 offset0:54 offset1:63
	v_sub_f16_e32 v0, v3, v15
	v_sub_f16_e32 v3, v11, v17
	;; [unrolled: 1-line block ×4, first 2 shown]
	v_add_f16_e32 v16, v4, v47
	v_pack_b32_f16 v29, v34, v29
	v_pack_b32_f16 v1, v1, v3
	;; [unrolled: 1-line block ×3, first 2 shown]
	v_lshrrev_b32_e32 v3, 16, v219
	v_add_f16_e32 v8, v45, v37
	v_add_f16_e32 v16, v16, v26
	ds_store_2addr_b32 v216, v23, v29 offset0:18 offset1:27
	ds_store_2addr_b32 v216, v1, v0 offset0:72 offset1:81
	v_lshrrev_b32_e32 v0, 16, v9
	v_sub_f16_e32 v34, v37, v27
	v_add_f16_e32 v16, v16, v36
	s_delay_alu instid0(VALU_DEP_3) | instskip(SKIP_1) | instid1(VALU_DEP_4)
	v_mul_f16_e32 v1, v3, v0
	v_mul_f16_e32 v3, v3, v9
	v_add_f16_e32 v32, v32, v34
	v_sub_f16_e32 v34, v45, v37
	v_sub_f16_e32 v37, v5, v6
	v_fmac_f16_e64 v1, v219, v9
	v_fma_f16 v0, v219, v0, -v3
	v_add_f16_e32 v3, v52, v27
	v_lshrrev_b32_e32 v9, 16, v65
	v_add_f16_e32 v37, v37, v38
	v_add_f16_e32 v12, v46, v1
	v_sub_f16_e32 v14, v25, v1
	v_fma_f16 v3, -0.5, v3, v65
	v_fmac_f16_e32 v65, -0.5, v8
	v_sub_f16_e32 v8, v52, v45
	v_sub_f16_e32 v28, v46, v1
	v_add_f16_e32 v15, v47, v0
	v_sub_f16_e32 v17, v36, v0
	v_sub_f16_e32 v29, v47, v0
	v_add_f16_e32 v8, v8, v11
	v_add_f16_e32 v11, v24, v25
	v_sub_f16_e32 v25, v1, v25
	v_add_f16_e32 v1, v13, v1
	v_sub_f16_e32 v27, v52, v27
	v_fmamk_f16 v39, v19, 0xbb9c, v3
	v_fma_f16 v11, -0.5, v11, v44
	v_fmac_f16_e32 v44, -0.5, v12
	v_sub_f16_e32 v12, v24, v46
	v_sub_f16_e32 v24, v46, v24
	v_fmac_f16_e32 v3, 0x3b9c, v19
	s_delay_alu instid0(VALU_DEP_4) | instskip(NEXT) | instid1(VALU_DEP_4)
	v_fmamk_f16 v21, v20, 0x3b9c, v44
	v_add_f16_e32 v12, v12, v14
	v_add_f16_e32 v14, v26, v36
	;; [unrolled: 1-line block ×3, first 2 shown]
	v_sub_f16_e32 v24, v47, v26
	v_sub_f16_e32 v25, v0, v36
	v_add_f16_e32 v0, v16, v0
	v_fma_f16 v14, -0.5, v14, v4
	v_fmac_f16_e32 v4, -0.5, v15
	v_sub_f16_e32 v15, v26, v47
	v_add_f16_e32 v16, v24, v25
	v_fmamk_f16 v25, v29, 0xbb9c, v11
	v_fmamk_f16 v24, v28, 0x3b9c, v14
	v_add_f16_e32 v36, v10, v1
	v_add_f16_e32 v15, v15, v17
	v_sub_f16_e32 v17, v6, v7
	v_fmac_f16_e32 v25, 0xb8b4, v20
	v_fmac_f16_e32 v24, 0x38b4, v22
	v_fmamk_f16 v23, v22, 0xbb9c, v4
	v_fmac_f16_e32 v4, 0x3b9c, v22
	v_fmac_f16_e32 v39, 0xb8b4, v17
	;; [unrolled: 1-line block ×5, first 2 shown]
	v_fmamk_f16 v18, v17, 0x3b9c, v65
	v_fmac_f16_e32 v39, 0x34f2, v32
	v_fmac_f16_e32 v44, 0xbb9c, v20
	v_mul_f16_e32 v26, 0xb8b4, v24
	v_mul_f16_e32 v24, 0x3a79, v24
	v_fmac_f16_e32 v4, 0xb8b4, v28
	v_fmac_f16_e32 v23, 0x34f2, v15
	;; [unrolled: 1-line block ×5, first 2 shown]
	v_add_f16_e32 v25, v9, v5
	v_fmac_f16_e32 v65, 0xbb9c, v17
	v_fmac_f16_e32 v44, 0x38b4, v29
	v_add_f16_e32 v46, v39, v26
	v_fmac_f16_e32 v4, 0x34f2, v15
	v_add_f16_e32 v25, v25, v6
	v_fmac_f16_e32 v18, 0xb8b4, v19
	v_fmac_f16_e32 v21, 0x34f2, v12
	;; [unrolled: 1-line block ×4, first 2 shown]
	v_add_f16_e32 v25, v25, v7
	v_mul_f16_e32 v30, 0xbb9c, v4
	v_fmac_f16_e32 v18, 0x34f2, v8
	v_mul_f16_e32 v4, 0xb4f2, v4
	v_fmac_f16_e32 v65, 0x34f2, v8
	v_add_f16_e32 v25, v25, v2
	v_fmac_f16_e32 v30, 0xb4f2, v44
	v_fmac_f16_e32 v14, 0xbb9c, v28
	;; [unrolled: 1-line block ×4, first 2 shown]
	v_add_f16_e32 v38, v25, v0
	v_add_f16_e32 v31, v65, v30
	v_fmac_f16_e32 v14, 0xb8b4, v22
	v_fmac_f16_e32 v3, 0x38b4, v17
	;; [unrolled: 1-line block ×3, first 2 shown]
	v_pack_b32_f16 v36, v36, v38
	v_add_f16_e32 v38, v6, v7
	v_fmac_f16_e32 v14, 0x34f2, v16
	v_fmac_f16_e32 v3, 0x34f2, v32
	;; [unrolled: 1-line block ×3, first 2 shown]
	v_sub_f16_e32 v1, v10, v1
	v_fma_f16 v38, -0.5, v38, v9
	v_sub_f16_e32 v0, v25, v0
	v_sub_f16_e32 v30, v65, v30
	s_delay_alu instid0(VALU_DEP_3) | instskip(SKIP_1) | instid1(VALU_DEP_4)
	v_fmamk_f16 v45, v34, 0x3b9c, v38
	v_fmac_f16_e32 v38, 0xbb9c, v34
	v_pack_b32_f16 v0, v1, v0
	s_delay_alu instid0(VALU_DEP_3) | instskip(NEXT) | instid1(VALU_DEP_3)
	v_fmac_f16_e32 v45, 0x38b4, v27
	v_fmac_f16_e32 v38, 0xb8b4, v27
	s_delay_alu instid0(VALU_DEP_2) | instskip(NEXT) | instid1(VALU_DEP_2)
	v_fmac_f16_e32 v45, 0x34f2, v37
	v_fmac_f16_e32 v38, 0x34f2, v37
	s_delay_alu instid0(VALU_DEP_2) | instskip(NEXT) | instid1(VALU_DEP_1)
	v_add_f16_e32 v47, v45, v24
	v_pack_b32_f16 v46, v46, v47
	ds_store_2addr_b32 v215, v36, v46 offset1:9
	v_add_f16_e32 v36, v5, v2
	v_sub_f16_e32 v5, v6, v5
	v_sub_f16_e32 v2, v7, v2
	v_mul_f16_e32 v6, 0x34f2, v23
	s_delay_alu instid0(VALU_DEP_4) | instskip(NEXT) | instid1(VALU_DEP_3)
	v_fmac_f16_e32 v9, -0.5, v36
	v_add_f16_e32 v2, v5, v2
	s_delay_alu instid0(VALU_DEP_3) | instskip(NEXT) | instid1(VALU_DEP_3)
	v_fmac_f16_e32 v6, 0x3b9c, v21
	v_fmamk_f16 v5, v27, 0xbb9c, v9
	v_fmac_f16_e32 v9, 0x3b9c, v27
	s_delay_alu instid0(VALU_DEP_2) | instskip(NEXT) | instid1(VALU_DEP_2)
	v_fmac_f16_e32 v5, 0x38b4, v34
	v_fmac_f16_e32 v9, 0xb8b4, v34
	s_delay_alu instid0(VALU_DEP_2) | instskip(NEXT) | instid1(VALU_DEP_2)
	v_fmac_f16_e32 v5, 0x34f2, v2
	v_fmac_f16_e32 v9, 0x34f2, v2
	v_mul_f16_e32 v2, 0xbb9c, v23
	s_delay_alu instid0(VALU_DEP_3) | instskip(SKIP_1) | instid1(VALU_DEP_3)
	v_add_f16_e32 v8, v5, v6
	v_sub_f16_e32 v5, v5, v6
	v_fmac_f16_e32 v2, 0x34f2, v21
	s_delay_alu instid0(VALU_DEP_1) | instskip(SKIP_2) | instid1(VALU_DEP_3)
	v_add_f16_e32 v7, v18, v2
	v_sub_f16_e32 v1, v18, v2
	v_sub_f16_e32 v2, v45, v24
	v_pack_b32_f16 v7, v7, v8
	v_add_f16_e32 v8, v9, v4
	s_delay_alu instid0(VALU_DEP_4) | instskip(NEXT) | instid1(VALU_DEP_2)
	v_pack_b32_f16 v1, v1, v5
	v_pack_b32_f16 v8, v31, v8
	ds_store_2addr_b32 v215, v7, v8 offset0:18 offset1:27
	v_mul_f16_e32 v7, 0xb8b4, v14
	v_mul_f16_e32 v8, 0xba79, v14
	s_delay_alu instid0(VALU_DEP_2) | instskip(NEXT) | instid1(VALU_DEP_2)
	v_fmac_f16_e32 v7, 0xba79, v11
	v_fmac_f16_e32 v8, 0x38b4, v11
	s_delay_alu instid0(VALU_DEP_2) | instskip(NEXT) | instid1(VALU_DEP_2)
	v_add_f16_e32 v10, v3, v7
	v_add_f16_e32 v11, v38, v8
	s_delay_alu instid0(VALU_DEP_1) | instskip(SKIP_2) | instid1(VALU_DEP_1)
	v_pack_b32_f16 v10, v10, v11
	ds_store_2addr_b32 v215, v10, v0 offset0:36 offset1:45
	v_sub_f16_e32 v0, v39, v26
	v_pack_b32_f16 v0, v0, v2
	v_sub_f16_e32 v2, v38, v8
	ds_store_2addr_b32 v215, v0, v1 offset0:54 offset1:63
	v_sub_f16_e32 v0, v3, v7
	v_sub_f16_e32 v1, v9, v4
	s_delay_alu instid0(VALU_DEP_2) | instskip(NEXT) | instid1(VALU_DEP_2)
	v_pack_b32_f16 v0, v0, v2
	v_pack_b32_f16 v1, v30, v1
	ds_store_2addr_b32 v215, v1, v0 offset0:72 offset1:81
	s_waitcnt lgkmcnt(0)
	s_barrier
	buffer_gl0_inv
	ds_load_2addr_b32 v[0:1], v241 offset0:48 offset1:156
	s_waitcnt lgkmcnt(0)
	v_lshrrev_b32_e32 v2, 16, v1
	v_mul_f16_e64 v3, v142, v1
	s_delay_alu instid0(VALU_DEP_2) | instskip(NEXT) | instid1(VALU_DEP_2)
	v_mul_f16_e64 v38, v142, v2
	v_fma_f16 v39, v169, v2, -v3
	ds_load_2addr_b32 v[2:3], v162 offset0:56 offset1:164
	v_fmac_f16_e64 v38, v169, v1
	s_waitcnt lgkmcnt(0)
	v_lshrrev_b32_e32 v4, 16, v2
	v_mul_f16_e64 v5, v223, v2
	s_delay_alu instid0(VALU_DEP_2) | instskip(NEXT) | instid1(VALU_DEP_2)
	v_mul_f16_e64 v11, v223, v4
	v_fma_f16 v12, v170, v4, -v5
	ds_load_2addr_b32 v[4:5], v147 offset0:104 offset1:212
	v_fmac_f16_e64 v11, v170, v2
	ds_load_2addr_b32 v[1:2], v126 offset0:136 offset1:244
	s_waitcnt lgkmcnt(1)
	v_lshrrev_b32_e32 v6, 16, v5
	v_mul_f16_e32 v7, v127, v5
	s_delay_alu instid0(VALU_DEP_2) | instskip(NEXT) | instid1(VALU_DEP_2)
	v_mul_f16_e32 v13, v127, v6
	v_fma_f16 v14, v171, v6, -v7
	ds_load_2addr_b32 v[6:7], v161 offset0:112 offset1:220
	v_fmac_f16_e64 v13, v171, v5
	v_lshrrev_b32_e32 v5, 16, v3
	s_delay_alu instid0(VALU_DEP_1) | instskip(NEXT) | instid1(VALU_DEP_1)
	v_mul_f16_e64 v45, v128, v5
	v_fmac_f16_e64 v45, v166, v3
	v_mul_f16_e64 v3, v128, v3
	s_waitcnt lgkmcnt(0)
	v_lshrrev_b32_e32 v8, 16, v6
	v_mul_f16_e64 v9, v242, v6
	s_delay_alu instid0(VALU_DEP_3) | instskip(NEXT) | instid1(VALU_DEP_3)
	v_fma_f16 v54, v166, v5, -v3
	v_mul_f16_e64 v15, v242, v8
	s_delay_alu instid0(VALU_DEP_3) | instskip(SKIP_2) | instid1(VALU_DEP_4)
	v_fma_f16 v28, v172, v8, -v9
	v_mul_f16_e64 v9, v248, v1
	v_lshrrev_b32_e32 v8, 16, v7
	v_fmac_f16_e64 v15, v172, v6
	v_lshrrev_b32_e32 v6, 16, v1
	v_add_f16_e32 v52, v12, v28
	s_delay_alu instid0(VALU_DEP_4) | instskip(NEXT) | instid1(VALU_DEP_3)
	v_mul_f16_e64 v47, v131, v8
	v_mul_f16_e64 v36, v248, v6
	v_fma_f16 v37, v165, v6, -v9
	ds_load_2addr_b32 v[5:6], v133 offset0:64 offset1:172
	v_fmac_f16_e64 v47, v168, v7
	v_mul_f16_e64 v7, v131, v7
	v_fmac_f16_e64 v36, v165, v1
	v_lshrrev_b32_e32 v1, 16, v2
	s_delay_alu instid0(VALU_DEP_3) | instskip(NEXT) | instid1(VALU_DEP_2)
	v_fma_f16 v66, v168, v8, -v7
	v_mul_f16_e32 v17, v121, v1
	s_delay_alu instid0(VALU_DEP_1) | instskip(SKIP_1) | instid1(VALU_DEP_1)
	v_fmac_f16_e32 v17, v122, v2
	v_mul_f16_e32 v2, v121, v2
	v_fma_f16 v20, v122, v1, -v2
	ds_load_2addr_b32 v[1:2], v138 offset0:16 offset1:124
	s_waitcnt lgkmcnt(1)
	v_lshrrev_b32_e32 v3, 16, v5
	v_mul_f16_e64 v9, v205, v5
	s_delay_alu instid0(VALU_DEP_2) | instskip(NEXT) | instid1(VALU_DEP_2)
	v_mul_f16_e64 v55, v205, v3
	v_fma_f16 v65, v167, v3, -v9
	v_lshrrev_b32_e32 v3, 16, v6
	s_delay_alu instid0(VALU_DEP_3) | instskip(SKIP_1) | instid1(VALU_DEP_3)
	v_fmac_f16_e64 v55, v167, v5
	v_mul_f16_e32 v5, v120, v6
	v_mul_f16_e32 v25, v120, v3
	s_delay_alu instid0(VALU_DEP_2) | instskip(NEXT) | instid1(VALU_DEP_2)
	v_fma_f16 v27, v124, v3, -v5
	v_fmac_f16_e32 v25, v124, v6
	s_waitcnt lgkmcnt(0)
	v_lshrrev_b32_e32 v6, 16, v1
	v_mul_f16_e64 v7, v176, v1
	s_delay_alu instid0(VALU_DEP_2) | instskip(NEXT) | instid1(VALU_DEP_2)
	v_mul_f16_e64 v32, v176, v6
	v_fma_f16 v44, v123, v6, -v7
	ds_load_2addr_b32 v[5:6], v150 offset0:72 offset1:180
	v_fmac_f16_e32 v32, v123, v1
	s_waitcnt lgkmcnt(0)
	v_lshrrev_b32_e32 v3, 16, v5
	v_mul_f16_e64 v7, v178, v5
	v_mul_f16_e32 v8, v116, v6
	s_delay_alu instid0(VALU_DEP_3) | instskip(NEXT) | instid1(VALU_DEP_3)
	v_mul_f16_e64 v34, v178, v3
	v_fma_f16 v46, v125, v3, -v7
	v_lshrrev_b32_e32 v3, 16, v2
	v_lshrrev_b32_e32 v7, 16, v6
	s_delay_alu instid0(VALU_DEP_4) | instskip(SKIP_1) | instid1(VALU_DEP_4)
	v_fmac_f16_e32 v34, v125, v5
	v_mul_f16_e32 v5, v103, v2
	v_mul_f16_e32 v19, v103, v3
	s_delay_alu instid0(VALU_DEP_4)
	v_mul_f16_e32 v21, v116, v7
	v_fma_f16 v26, v160, v7, -v8
	v_lshrrev_b32_e32 v7, 16, v4
	v_fma_f16 v24, v158, v3, -v5
	v_fmac_f16_e64 v19, v158, v2
	ds_load_2addr_b32 v[1:2], v100 offset0:96 offset1:204
	v_fmac_f16_e64 v21, v160, v6
	v_lshrrev_b32_e32 v8, 16, v245
	s_waitcnt lgkmcnt(0)
	v_lshrrev_b32_e32 v6, 16, v1
	v_mul_f16_e32 v9, v102, v1
	s_delay_alu instid0(VALU_DEP_2) | instskip(NEXT) | instid1(VALU_DEP_2)
	v_mul_f16_e32 v16, v102, v6
	v_fma_f16 v18, v157, v6, -v9
	ds_load_2addr_b32 v[5:6], v149 offset0:24 offset1:132
	v_fmac_f16_e64 v16, v157, v1
	s_waitcnt lgkmcnt(0)
	v_lshrrev_b32_e32 v3, 16, v5
	v_mul_f16_e32 v9, v106, v5
	v_mul_f16_e64 v10, v187, v6
	s_delay_alu instid0(VALU_DEP_3) | instskip(NEXT) | instid1(VALU_DEP_3)
	v_mul_f16_e32 v23, v106, v3
	v_fma_f16 v22, v159, v3, -v9
	v_mul_f16_e32 v3, v8, v7
	v_lshrrev_b32_e32 v9, 16, v6
	v_mul_f16_e32 v8, v8, v4
	v_fmac_f16_e64 v23, v159, v5
	v_lshrrev_b32_e32 v5, 16, v2
	v_fmac_f16_e64 v3, v245, v4
	v_mul_f16_e64 v4, v187, v9
	s_delay_alu instid0(VALU_DEP_3) | instskip(NEXT) | instid1(VALU_DEP_2)
	v_mul_f16_e64 v1, v182, v5
	v_fmac_f16_e64 v4, v246, v6
	v_fma_f16 v6, v245, v7, -v8
	v_lshrrev_b32_e32 v8, 16, v247
	s_delay_alu instid0(VALU_DEP_4) | instskip(SKIP_1) | instid1(VALU_DEP_1)
	v_fmac_f16_e64 v1, v244, v2
	v_mul_f16_e64 v2, v182, v2
	v_fma_f16 v2, v244, v5, -v2
	v_fma_f16 v5, v246, v9, -v10
	ds_load_2addr_b32 v[9:10], v228 offset0:32 offset1:140
	s_waitcnt lgkmcnt(0)
	v_lshrrev_b32_e32 v7, 16, v9
	v_mul_f16_e32 v29, v8, v9
	v_mul_f16_e64 v30, v152, v10
	s_delay_alu instid0(VALU_DEP_3) | instskip(NEXT) | instid1(VALU_DEP_3)
	v_mul_f16_e32 v8, v8, v7
	v_fma_f16 v7, v247, v7, -v29
	s_delay_alu instid0(VALU_DEP_2) | instskip(SKIP_1) | instid1(VALU_DEP_1)
	v_fmac_f16_e64 v8, v247, v9
	v_lshrrev_b32_e32 v9, 16, v10
	v_mul_f16_e64 v29, v152, v9
	v_fma_f16 v30, v141, v9, -v30
	s_delay_alu instid0(VALU_DEP_2) | instskip(SKIP_3) | instid1(VALU_DEP_1)
	v_fmac_f16_e64 v29, v141, v10
	ds_load_2addr_b32 v[9:10], v154 offset1:108
	s_waitcnt lgkmcnt(0)
	v_lshrrev_b32_e32 v67, 16, v9
	v_add_f16_e32 v31, v67, v12
	v_sub_f16_e32 v12, v12, v28
	v_fmac_f16_e32 v67, -0.5, v52
	v_add_f16_e32 v52, v13, v29
	s_delay_alu instid0(VALU_DEP_4) | instskip(SKIP_2) | instid1(VALU_DEP_2)
	v_add_f16_e32 v68, v31, v28
	v_add_f16_e32 v28, v9, v11
	;; [unrolled: 1-line block ×5, first 2 shown]
	v_sub_f16_e32 v11, v11, v15
	v_add_f16_e32 v15, v14, v30
	v_sub_f16_e32 v14, v14, v30
	v_add_f16_e32 v70, v31, v30
	v_fma_f16 v9, -0.5, v28, v9
	v_fmamk_f16 v75, v11, 0x3aee, v67
	v_fmac_f16_e32 v39, -0.5, v15
	v_add_f16_e32 v15, v38, v13
	v_sub_f16_e32 v13, v13, v29
	v_fmac_f16_e32 v38, -0.5, v52
	v_add_f16_e32 v30, v68, v70
	v_fmamk_f16 v74, v12, 0xbaee, v9
	v_add_f16_e32 v15, v15, v29
	v_fmamk_f16 v29, v13, 0x3aee, v39
	v_fmac_f16_e32 v39, 0xbaee, v13
	v_fmac_f16_e32 v9, 0x3aee, v12
	v_fmac_f16_e32 v67, 0xbaee, v11
	v_sub_f16_e32 v13, v69, v15
	v_mul_f16_e32 v71, 0xbaee, v29
	v_mul_f16_e32 v72, 0.5, v29
	v_fmamk_f16 v29, v14, 0xbaee, v38
	v_fmac_f16_e32 v38, 0x3aee, v14
	v_mul_f16_e32 v11, 0xbaee, v39
	v_mul_f16_e32 v12, -0.5, v39
	v_sub_f16_e32 v14, v68, v70
	v_fmac_f16_e32 v71, 0.5, v29
	v_fmac_f16_e32 v72, 0x3aee, v29
	v_add_f16_e32 v29, v69, v15
	v_fmac_f16_e32 v11, -0.5, v38
	v_fmac_f16_e32 v12, 0x3aee, v38
	v_add_f16_e32 v28, v74, v71
	v_pack_b32_f16 v13, v13, v14
	v_pack_b32_f16 v73, v29, v30
	v_add_f16_e32 v29, v75, v72
	v_add_f16_e32 v15, v9, v11
	;; [unrolled: 1-line block ×3, first 2 shown]
	v_sub_f16_e32 v9, v9, v11
	v_sub_f16_e32 v12, v67, v12
	v_pack_b32_f16 v76, v28, v29
	ds_load_2addr_b32 v[28:29], v132 offset0:120 offset1:228
	ds_load_2addr_b32 v[30:31], v240 offset0:88 offset1:196
	;; [unrolled: 1-line block ×3, first 2 shown]
	s_waitcnt lgkmcnt(0)
	s_barrier
	buffer_gl0_inv
	scratch_load_b32 v14, off, off offset:348 ; 4-byte Folded Reload
	v_pack_b32_f16 v9, v9, v12
	scratch_load_b32 v12, off, off offset:352 ; 4-byte Folded Reload
	v_pack_b32_f16 v15, v15, v38
	v_sub_f16_e32 v11, v75, v72
	v_add_f16_e32 v39, v37, v65
	ds_store_2addr_b32 v225, v73, v76 offset1:90
	s_waitcnt vmcnt(1)
	ds_store_2addr_b32 v14, v15, v13 offset0:52 offset1:142
	v_sub_f16_e32 v13, v74, v71
	v_add_f16_e32 v14, v10, v45
	v_add_f16_e32 v15, v54, v66
	s_delay_alu instid0(VALU_DEP_3) | instskip(SKIP_1) | instid1(VALU_DEP_4)
	v_pack_b32_f16 v11, v13, v11
	v_lshrrev_b32_e32 v13, 16, v10
	v_add_f16_e32 v14, v14, v47
	s_waitcnt vmcnt(0)
	ds_store_2addr_b32 v12, v11, v9 offset0:104 offset1:194
	v_lshrrev_b32_e32 v9, 16, v28
	v_mul_f16_e64 v11, v229, v28
	s_delay_alu instid0(VALU_DEP_2) | instskip(NEXT) | instid1(VALU_DEP_2)
	v_mul_f16_e64 v12, v229, v9
	v_fma_f16 v9, v220, v9, -v11
	v_add_f16_e32 v11, v45, v47
	s_delay_alu instid0(VALU_DEP_3) | instskip(NEXT) | instid1(VALU_DEP_3)
	v_fmac_f16_e64 v12, v220, v28
	v_add_f16_e32 v38, v65, v9
	s_delay_alu instid0(VALU_DEP_3)
	v_fmac_f16_e32 v10, -0.5, v11
	v_add_f16_e32 v11, v13, v54
	v_fmac_f16_e32 v13, -0.5, v15
	v_sub_f16_e32 v15, v45, v47
	v_fmac_f16_e32 v37, -0.5, v38
	v_add_f16_e32 v38, v36, v55
	v_add_f16_e32 v45, v55, v12
	v_sub_f16_e32 v47, v55, v12
	v_sub_f16_e32 v28, v54, v66
	v_add_f16_e32 v11, v11, v66
	v_add_f16_e32 v12, v38, v12
	v_fmac_f16_e32 v36, -0.5, v45
	v_sub_f16_e32 v38, v65, v9
	v_add_f16_e32 v9, v39, v9
	v_fmamk_f16 v39, v47, 0x3aee, v37
	v_fmac_f16_e32 v37, 0xbaee, v47
	v_fmamk_f16 v65, v15, 0x3aee, v13
	v_fmamk_f16 v54, v38, 0xbaee, v36
	v_add_f16_e32 v55, v11, v9
	v_mul_f16_e32 v45, 0xbaee, v39
	v_mul_f16_e32 v39, 0.5, v39
	v_sub_f16_e32 v9, v11, v9
	v_fmac_f16_e32 v13, 0xbaee, v15
	v_fmac_f16_e32 v36, 0x3aee, v38
	v_fmac_f16_e32 v45, 0.5, v54
	v_fmac_f16_e32 v39, 0x3aee, v54
	v_add_f16_e32 v54, v14, v12
	v_sub_f16_e32 v12, v14, v12
	v_mul_f16_e32 v15, 0xbaee, v37
	s_delay_alu instid0(VALU_DEP_4) | instskip(NEXT) | instid1(VALU_DEP_4)
	v_add_f16_e32 v67, v65, v39
	v_pack_b32_f16 v54, v54, v55
	s_delay_alu instid0(VALU_DEP_4)
	v_pack_b32_f16 v9, v12, v9
	scratch_load_b32 v12, off, off offset:336 ; 4-byte Folded Reload
	v_fmamk_f16 v55, v28, 0xbaee, v10
	v_fmac_f16_e32 v10, 0x3aee, v28
	v_mul_f16_e32 v28, -0.5, v37
	v_fmac_f16_e32 v15, -0.5, v36
	s_delay_alu instid0(VALU_DEP_4) | instskip(NEXT) | instid1(VALU_DEP_3)
	v_add_f16_e32 v66, v55, v45
	v_fmac_f16_e32 v28, 0x3aee, v36
	s_delay_alu instid0(VALU_DEP_3) | instskip(NEXT) | instid1(VALU_DEP_3)
	v_add_f16_e32 v11, v10, v15
	v_pack_b32_f16 v66, v66, v67
	s_delay_alu instid0(VALU_DEP_3)
	v_add_f16_e32 v14, v13, v28
	ds_store_2addr_b32 v250, v54, v66 offset1:90
	v_lshrrev_b32_e32 v54, 16, v192
	v_pack_b32_f16 v11, v11, v14
	v_sub_f16_e32 v14, v44, v46
	s_waitcnt vmcnt(0)
	ds_store_2addr_b32 v12, v11, v9 offset0:52 offset1:142
	v_sub_f16_e32 v9, v10, v15
	v_sub_f16_e32 v10, v55, v45
	;; [unrolled: 1-line block ×4, first 2 shown]
	v_add_f16_e32 v13, v44, v46
	v_add_f16_e32 v15, v32, v34
	v_sub_f16_e32 v28, v32, v34
	v_pack_b32_f16 v10, v10, v11
	scratch_load_b32 v11, off, off offset:340 ; 4-byte Folded Reload
	v_pack_b32_f16 v9, v9, v12
	v_fma_f16 v15, -0.5, v15, v30
	s_waitcnt vmcnt(0)
	ds_store_2addr_b32 v11, v10, v9 offset0:104 offset1:194
	v_lshrrev_b32_e32 v9, 16, v29
	v_mul_f16_e64 v11, v251, v29
	s_delay_alu instid0(VALU_DEP_2) | instskip(NEXT) | instid1(VALU_DEP_2)
	v_mul_f16_e64 v10, v251, v9
	v_fma_f16 v9, v233, v9, -v11
	v_lshrrev_b32_e32 v11, 16, v30
	s_delay_alu instid0(VALU_DEP_3) | instskip(NEXT) | instid1(VALU_DEP_3)
	v_fmac_f16_e64 v10, v233, v29
	v_add_f16_e32 v29, v27, v9
	s_delay_alu instid0(VALU_DEP_3)
	v_add_f16_e32 v12, v11, v44
	v_fmac_f16_e32 v11, -0.5, v13
	v_add_f16_e32 v13, v30, v32
	v_add_f16_e32 v32, v20, v27
	v_fmac_f16_e32 v20, -0.5, v29
	v_add_f16_e32 v29, v17, v25
	v_sub_f16_e32 v27, v27, v9
	v_add_f16_e32 v13, v13, v34
	v_add_f16_e32 v34, v25, v10
	v_sub_f16_e32 v25, v25, v10
	v_add_f16_e32 v10, v29, v10
	v_add_f16_e32 v12, v12, v46
	;; [unrolled: 1-line block ×3, first 2 shown]
	v_fmac_f16_e32 v17, -0.5, v34
	v_fmamk_f16 v29, v25, 0x3aee, v20
	v_fmac_f16_e32 v20, 0xbaee, v25
	v_fmamk_f16 v30, v14, 0xbaee, v15
	v_add_f16_e32 v36, v12, v9
	v_fmamk_f16 v34, v27, 0xbaee, v17
	v_mul_f16_e32 v32, 0xbaee, v29
	v_mul_f16_e32 v29, 0.5, v29
	v_sub_f16_e32 v9, v12, v9
	v_fmac_f16_e32 v15, 0x3aee, v14
	v_fmac_f16_e32 v17, 0x3aee, v27
	v_fmac_f16_e32 v32, 0.5, v34
	v_fmac_f16_e32 v29, 0x3aee, v34
	v_add_f16_e32 v34, v13, v10
	v_sub_f16_e32 v10, v13, v10
	v_mul_f16_e32 v14, 0xbaee, v20
	v_mul_f16_e32 v20, -0.5, v20
	v_add_f16_e32 v37, v30, v32
	v_pack_b32_f16 v34, v34, v36
	v_pack_b32_f16 v9, v10, v9
	scratch_load_b32 v10, off, off offset:360 ; 4-byte Folded Reload
	v_fmamk_f16 v36, v28, 0x3aee, v11
	v_fmac_f16_e32 v11, 0xbaee, v28
	v_fmac_f16_e32 v14, -0.5, v17
	v_fmac_f16_e32 v20, 0x3aee, v17
	s_delay_alu instid0(VALU_DEP_4) | instskip(NEXT) | instid1(VALU_DEP_3)
	v_add_f16_e32 v38, v36, v29
	v_add_f16_e32 v12, v15, v14
	s_delay_alu instid0(VALU_DEP_3) | instskip(SKIP_1) | instid1(VALU_DEP_4)
	v_add_f16_e32 v13, v11, v20
	v_sub_f16_e32 v11, v11, v20
	v_pack_b32_f16 v37, v37, v38
	s_delay_alu instid0(VALU_DEP_3)
	v_pack_b32_f16 v12, v12, v13
	v_add_f16_e32 v13, v31, v19
	ds_store_2addr_b32 v114, v34, v37 offset1:90
	v_add_f16_e32 v13, v13, v21
	s_waitcnt vmcnt(0)
	ds_store_2addr_b32 v10, v12, v9 offset0:52 offset1:142
	v_sub_f16_e32 v10, v15, v14
	v_sub_f16_e32 v9, v30, v32
	;; [unrolled: 1-line block ×3, first 2 shown]
	v_add_f16_e32 v14, v24, v26
	v_sub_f16_e32 v15, v24, v26
	v_pack_b32_f16 v10, v10, v11
	scratch_load_b32 v11, off, off offset:364 ; 4-byte Folded Reload
	v_pack_b32_f16 v9, v9, v12
	v_lshrrev_b32_e32 v12, 16, v31
	s_waitcnt vmcnt(0)
	ds_store_2addr_b32 v11, v9, v10 offset0:104 offset1:194
	v_lshrrev_b32_e32 v9, 16, v52
	v_mul_f16_e32 v10, v35, v52
	s_delay_alu instid0(VALU_DEP_2) | instskip(NEXT) | instid1(VALU_DEP_2)
	v_mul_f16_e32 v11, v35, v9
	v_fma_f16 v9, v224, v9, -v10
	v_add_f16_e32 v10, v19, v21
	s_delay_alu instid0(VALU_DEP_3) | instskip(NEXT) | instid1(VALU_DEP_3)
	v_fmac_f16_e64 v11, v224, v52
	v_add_f16_e32 v17, v22, v9
	s_delay_alu instid0(VALU_DEP_3)
	v_fmac_f16_e32 v31, -0.5, v10
	v_add_f16_e32 v10, v12, v24
	v_fmac_f16_e32 v12, -0.5, v14
	v_sub_f16_e32 v14, v19, v21
	v_add_f16_e32 v19, v18, v22
	v_fmac_f16_e32 v18, -0.5, v17
	v_add_f16_e32 v17, v16, v23
	v_add_f16_e32 v20, v23, v11
	v_sub_f16_e32 v21, v23, v11
	v_add_f16_e32 v10, v10, v26
	v_fmamk_f16 v24, v14, 0x3aee, v12
	v_add_f16_e32 v11, v17, v11
	v_fmac_f16_e32 v16, -0.5, v20
	v_sub_f16_e32 v17, v22, v9
	v_add_f16_e32 v9, v19, v9
	v_fmamk_f16 v19, v21, 0x3aee, v18
	v_fmac_f16_e32 v18, 0xbaee, v21
	v_fmac_f16_e32 v12, 0xbaee, v14
	v_fmamk_f16 v22, v17, 0xbaee, v16
	v_add_f16_e32 v23, v10, v9
	v_mul_f16_e32 v20, 0xbaee, v19
	v_mul_f16_e32 v19, 0.5, v19
	v_sub_f16_e32 v9, v10, v9
	v_fmac_f16_e32 v16, 0x3aee, v17
	v_mul_f16_e32 v14, 0xbaee, v18
	v_fmac_f16_e32 v20, 0.5, v22
	v_fmac_f16_e32 v19, 0x3aee, v22
	v_add_f16_e32 v22, v13, v11
	v_sub_f16_e32 v11, v13, v11
	v_fmac_f16_e32 v14, -0.5, v16
	s_delay_alu instid0(VALU_DEP_4) | instskip(NEXT) | instid1(VALU_DEP_4)
	v_add_f16_e32 v26, v24, v19
	v_pack_b32_f16 v22, v22, v23
	s_delay_alu instid0(VALU_DEP_4) | instskip(SKIP_4) | instid1(VALU_DEP_3)
	v_pack_b32_f16 v9, v11, v9
	scratch_load_b32 v11, off, off offset:356 ; 4-byte Folded Reload
	v_fmamk_f16 v23, v15, 0xbaee, v31
	v_fmac_f16_e32 v31, 0x3aee, v15
	v_mul_f16_e32 v15, -0.5, v18
	v_add_f16_e32 v25, v23, v20
	s_delay_alu instid0(VALU_DEP_3) | instskip(NEXT) | instid1(VALU_DEP_3)
	v_add_f16_e32 v10, v31, v14
	v_fmac_f16_e32 v15, 0x3aee, v16
	s_delay_alu instid0(VALU_DEP_3) | instskip(NEXT) | instid1(VALU_DEP_2)
	v_pack_b32_f16 v25, v25, v26
	v_add_f16_e32 v13, v12, v15
	v_sub_f16_e32 v12, v12, v15
	v_add_f16_e32 v15, v2, v5
	ds_store_2addr_b32 v255, v22, v25 offset1:90
	v_pack_b32_f16 v10, v10, v13
	v_add_f16_e32 v13, v0, v3
	s_waitcnt vmcnt(0)
	ds_store_2addr_b32 v11, v10, v9 offset0:52 offset1:142
	v_sub_f16_e32 v10, v23, v20
	v_sub_f16_e32 v11, v24, v19
	;; [unrolled: 1-line block ×3, first 2 shown]
	v_add_f16_e32 v14, v1, v4
	s_delay_alu instid0(VALU_DEP_3) | instskip(SKIP_3) | instid1(VALU_DEP_1)
	v_pack_b32_f16 v10, v10, v11
	scratch_load_b32 v11, off, off offset:344 ; 4-byte Folded Reload
	v_pack_b32_f16 v9, v9, v12
	v_lshrrev_b32_e32 v12, 16, v0
	v_add_f16_e32 v16, v12, v6
	s_waitcnt vmcnt(0)
	ds_store_2addr_b32 v11, v10, v9 offset0:104 offset1:194
	v_lshrrev_b32_e32 v9, 16, v53
	v_lshrrev_b32_e32 v11, 16, v183
	s_delay_alu instid0(VALU_DEP_1) | instskip(SKIP_1) | instid1(VALU_DEP_2)
	v_mul_f16_e32 v10, v11, v9
	v_mul_f16_e32 v11, v11, v53
	v_fmac_f16_e64 v10, v183, v53
	s_delay_alu instid0(VALU_DEP_2) | instskip(SKIP_4) | instid1(VALU_DEP_4)
	v_fma_f16 v9, v183, v9, -v11
	v_add_f16_e32 v11, v3, v8
	v_sub_f16_e32 v3, v3, v8
	v_add_f16_e32 v8, v13, v8
	v_lshrrev_b32_e32 v53, 16, v174
	v_fmac_f16_e32 v0, -0.5, v11
	v_add_f16_e32 v11, v4, v10
	v_sub_f16_e32 v4, v4, v10
	v_add_f16_e32 v10, v14, v10
	s_delay_alu instid0(VALU_DEP_3) | instskip(SKIP_3) | instid1(VALU_DEP_3)
	v_fmac_f16_e32 v1, -0.5, v11
	v_add_f16_e32 v11, v5, v9
	v_sub_f16_e32 v5, v5, v9
	v_add_f16_e32 v9, v15, v9
	v_fmac_f16_e32 v2, -0.5, v11
	v_add_f16_e32 v11, v6, v7
	v_sub_f16_e32 v6, v6, v7
	v_add_f16_e32 v7, v16, v7
	v_fmamk_f16 v14, v5, 0xbaee, v1
	v_fmac_f16_e32 v1, 0x3aee, v5
	v_fmac_f16_e32 v12, -0.5, v11
	v_fmamk_f16 v11, v4, 0x3aee, v2
	v_fmac_f16_e32 v2, 0xbaee, v4
	v_add_f16_e32 v15, v7, v9
	v_sub_f16_e32 v4, v7, v9
	v_fmamk_f16 v16, v3, 0x3aee, v12
	v_mul_f16_e32 v13, 0xbaee, v11
	v_mul_f16_e32 v11, 0.5, v11
	v_fmac_f16_e32 v12, 0xbaee, v3
	v_mul_f16_e32 v3, 0xbaee, v2
	v_mul_f16_e32 v2, -0.5, v2
	v_fmac_f16_e32 v13, 0.5, v14
	v_fmac_f16_e32 v11, 0x3aee, v14
	v_add_f16_e32 v14, v8, v10
	v_fmac_f16_e32 v3, -0.5, v1
	v_fmac_f16_e32 v2, 0x3aee, v1
	v_sub_f16_e32 v1, v8, v10
	v_add_f16_e32 v18, v16, v11
	v_pack_b32_f16 v14, v14, v15
	v_fmamk_f16 v15, v6, 0xbaee, v0
	v_fmac_f16_e32 v0, 0x3aee, v6
	v_pack_b32_f16 v1, v1, v4
	scratch_load_b32 v4, off, off offset:328 ; 4-byte Folded Reload
	v_add_f16_e32 v6, v12, v2
	v_sub_f16_e32 v2, v12, v2
	v_add_f16_e32 v5, v0, v3
	v_sub_f16_e32 v0, v0, v3
	;; [unrolled: 2-line block ×3, first 2 shown]
	s_delay_alu instid0(VALU_DEP_4) | instskip(NEXT) | instid1(VALU_DEP_4)
	v_pack_b32_f16 v5, v5, v6
	v_pack_b32_f16 v0, v0, v2
	scratch_load_b32 v2, off, off offset:332 ; 4-byte Folded Reload
	v_pack_b32_f16 v17, v17, v18
	ds_store_2addr_b32 v33, v14, v17 offset1:90
	s_waitcnt vmcnt(1)
	ds_store_2addr_b32 v4, v5, v1 offset0:52 offset1:142
	v_sub_f16_e32 v1, v15, v13
	s_delay_alu instid0(VALU_DEP_1)
	v_pack_b32_f16 v1, v1, v3
	s_waitcnt vmcnt(0)
	ds_store_2addr_b32 v2, v1, v0 offset0:104 offset1:194
	s_waitcnt lgkmcnt(0)
	s_barrier
	buffer_gl0_inv
	ds_load_2addr_b32 v[0:1], v241 offset0:48 offset1:156
	s_waitcnt lgkmcnt(0)
	v_lshrrev_b32_e32 v2, 16, v1
	v_mul_f16_e32 v3, v96, v1
	s_delay_alu instid0(VALU_DEP_2) | instskip(NEXT) | instid1(VALU_DEP_2)
	v_mul_f16_e32 v19, v96, v2
	v_fma_f16 v24, v48, v2, -v3
	ds_load_2addr_b32 v[2:3], v162 offset0:56 offset1:164
	v_fmac_f16_e32 v19, v48, v1
	s_waitcnt lgkmcnt(0)
	v_lshrrev_b32_e32 v4, 16, v2
	v_mul_f16_e32 v5, v109, v2
	s_delay_alu instid0(VALU_DEP_2) | instskip(NEXT) | instid1(VALU_DEP_2)
	v_mul_f16_e32 v36, v109, v4
	v_fma_f16 v37, v49, v4, -v5
	ds_load_2addr_b32 v[4:5], v147 offset0:104 offset1:212
	v_fmac_f16_e32 v36, v49, v2
	ds_load_2addr_b32 v[1:2], v126 offset0:136 offset1:244
	s_waitcnt lgkmcnt(1)
	v_lshrrev_b32_e32 v6, 16, v5
	v_mul_f16_e32 v7, v101, v5
	s_delay_alu instid0(VALU_DEP_2) | instskip(NEXT) | instid1(VALU_DEP_2)
	v_mul_f16_e32 v33, v101, v6
	v_fma_f16 v34, v50, v6, -v7
	ds_load_2addr_b32 v[6:7], v161 offset0:112 offset1:220
	v_fmac_f16_e32 v33, v50, v5
	v_lshrrev_b32_e32 v5, 16, v3
	v_lshrrev_b32_e32 v50, 16, v191
	s_delay_alu instid0(VALU_DEP_2) | instskip(NEXT) | instid1(VALU_DEP_1)
	v_mul_f16_e32 v22, v104, v5
	v_fmac_f16_e32 v22, v41, v3
	v_mul_f16_e32 v3, v104, v3
	s_waitcnt lgkmcnt(0)
	v_lshrrev_b32_e32 v8, 16, v6
	v_mul_f16_e32 v9, v110, v6
	s_delay_alu instid0(VALU_DEP_3) | instskip(NEXT) | instid1(VALU_DEP_3)
	v_fma_f16 v35, v41, v5, -v3
	v_mul_f16_e32 v44, v110, v8
	s_delay_alu instid0(VALU_DEP_3) | instskip(SKIP_2) | instid1(VALU_DEP_4)
	v_fma_f16 v39, v51, v8, -v9
	v_lshrrev_b32_e32 v8, 16, v7
	v_mul_f16_e32 v9, v113, v7
	v_fmac_f16_e32 v44, v51, v6
	v_lshrrev_b32_e32 v6, 16, v1
	s_delay_alu instid0(VALU_DEP_4) | instskip(NEXT) | instid1(VALU_DEP_4)
	v_mul_f16_e32 v30, v113, v8
	v_fma_f16 v38, v43, v8, -v9
	v_add_f16_e32 v69, v37, v39
	v_add_f16_e32 v67, v36, v44
	v_mul_f16_e32 v29, v105, v6
	v_fmac_f16_e32 v30, v43, v7
	v_mul_f16_e32 v7, v105, v1
	s_delay_alu instid0(VALU_DEP_3) | instskip(SKIP_1) | instid1(VALU_DEP_3)
	v_fmac_f16_e32 v29, v40, v1
	v_lshrrev_b32_e32 v1, 16, v2
	v_fma_f16 v32, v40, v6, -v7
	ds_load_2addr_b32 v[6:7], v133 offset0:64 offset1:172
	s_waitcnt lgkmcnt(0)
	v_lshrrev_b32_e32 v3, 16, v6
	v_mul_f16_e32 v5, v94, v6
	s_delay_alu instid0(VALU_DEP_2) | instskip(NEXT) | instid1(VALU_DEP_2)
	v_mul_f16_e32 v46, v94, v3
	v_fma_f16 v45, v42, v3, -v5
	v_mul_f16_e64 v3, v135, v2
	v_lshrrev_b32_e32 v5, 16, v7
	s_delay_alu instid0(VALU_DEP_4) | instskip(SKIP_1) | instid1(VALU_DEP_4)
	v_fmac_f16_e32 v46, v42, v6
	v_mul_f16_e64 v6, v135, v1
	v_fma_f16 v9, v60, v1, -v3
	s_delay_alu instid0(VALU_DEP_4)
	v_mul_f16_e64 v27, v181, v5
	ds_load_2addr_b32 v[42:43], v149 offset0:24 offset1:132
	v_add_f16_e32 v65, v29, v46
	v_fmac_f16_e32 v6, v60, v2
	ds_load_2addr_b32 v[1:2], v138 offset0:16 offset1:124
	v_fmac_f16_e32 v27, v62, v7
	v_mul_f16_e64 v7, v181, v7
	v_add_f16_e32 v66, v32, v45
	s_delay_alu instid0(VALU_DEP_2)
	v_fma_f16 v31, v62, v5, -v7
	s_waitcnt lgkmcnt(1)
	v_mul_f16_e64 v13, v155, v43
	s_waitcnt lgkmcnt(0)
	v_lshrrev_b32_e32 v3, 16, v1
	v_mul_f16_e64 v8, v136, v1
	s_delay_alu instid0(VALU_DEP_2) | instskip(NEXT) | instid1(VALU_DEP_2)
	v_mul_f16_e64 v23, v136, v3
	v_fma_f16 v25, v61, v3, -v8
	ds_load_2addr_b32 v[7:8], v150 offset0:72 offset1:180
	v_fmac_f16_e32 v23, v61, v1
	v_add_f16_e32 v61, v22, v30
	s_waitcnt lgkmcnt(0)
	v_lshrrev_b32_e32 v3, 16, v7
	v_mul_f16_e64 v5, v137, v7
	s_delay_alu instid0(VALU_DEP_2) | instskip(NEXT) | instid1(VALU_DEP_2)
	v_mul_f16_e64 v20, v137, v3
	v_fma_f16 v21, v63, v3, -v5
	v_lshrrev_b32_e32 v3, 16, v2
	v_mul_f16_e64 v5, v179, v2
	s_delay_alu instid0(VALU_DEP_4) | instskip(SKIP_1) | instid1(VALU_DEP_4)
	v_fmac_f16_e32 v20, v63, v7
	v_lshrrev_b32_e32 v7, 16, v8
	v_mul_f16_e64 v10, v179, v3
	s_delay_alu instid0(VALU_DEP_4)
	v_fma_f16 v26, v57, v3, -v5
	v_lshrrev_b32_e32 v3, 16, v42
	v_mul_f16_e64 v5, v129, v42
	v_mul_f16_e64 v16, v180, v7
	v_fmac_f16_e32 v10, v57, v2
	ds_load_2addr_b32 v[1:2], v100 offset0:96 offset1:204
	v_mul_f16_e64 v41, v129, v3
	v_fma_f16 v40, v58, v3, -v5
	v_fmac_f16_e32 v16, v59, v8
	v_mul_f16_e64 v8, v180, v8
	v_lshrrev_b32_e32 v3, 16, v4
	v_fmac_f16_e32 v41, v58, v42
	s_delay_alu instid0(VALU_DEP_3) | instskip(NEXT) | instid1(VALU_DEP_3)
	v_fma_f16 v28, v59, v7, -v8
	v_mul_f16_e64 v8, v239, v3
	s_delay_alu instid0(VALU_DEP_1)
	v_fmac_f16_e32 v8, v90, v4
	v_mul_f16_e64 v4, v239, v4
	s_waitcnt lgkmcnt(0)
	v_lshrrev_b32_e32 v11, 16, v1
	v_mul_f16_e32 v12, v64, v1
	v_add_f16_e32 v55, v0, v8
	s_delay_alu instid0(VALU_DEP_3) | instskip(NEXT) | instid1(VALU_DEP_3)
	v_mul_f16_e32 v17, v64, v11
	v_fma_f16 v18, v56, v11, -v12
	v_lshrrev_b32_e32 v12, 16, v43
	v_fma_f16 v11, v90, v3, -v4
	s_delay_alu instid0(VALU_DEP_4) | instskip(SKIP_1) | instid1(VALU_DEP_4)
	v_fmac_f16_e32 v17, v56, v1
	v_lshrrev_b32_e32 v1, 16, v2
	v_mul_f16_e64 v42, v155, v12
	v_fma_f16 v14, v91, v12, -v13
	s_delay_alu instid0(VALU_DEP_3) | instskip(NEXT) | instid1(VALU_DEP_3)
	v_mul_f16_e64 v5, v156, v1
	v_fmac_f16_e32 v42, v91, v43
	v_lshrrev_b32_e32 v43, 16, v186
	s_delay_alu instid0(VALU_DEP_3) | instskip(SKIP_1) | instid1(VALU_DEP_2)
	v_fmac_f16_e32 v5, v89, v2
	v_mul_f16_e64 v2, v156, v2
	v_add_f16_e32 v57, v5, v42
	s_delay_alu instid0(VALU_DEP_2)
	v_fma_f16 v7, v89, v1, -v2
	ds_load_2addr_b32 v[1:2], v228 offset0:32 offset1:140
	v_add_f16_e32 v56, v7, v14
	s_waitcnt lgkmcnt(0)
	v_lshrrev_b32_e32 v3, 16, v1
	v_mul_f16_e64 v4, v236, v1
	s_delay_alu instid0(VALU_DEP_2) | instskip(NEXT) | instid1(VALU_DEP_2)
	v_mul_f16_e64 v12, v236, v3
	v_fma_f16 v13, v92, v3, -v4
	scratch_load_b64 v[3:4], off, off offset:216 ; 8-byte Folded Reload
	v_fmac_f16_e32 v12, v92, v1
	s_waitcnt vmcnt(0)
	v_mov_b32_e32 v15, v3
	s_delay_alu instid0(VALU_DEP_1) | instskip(NEXT) | instid1(VALU_DEP_1)
	v_mad_u64_u32 v[3:4], null, s10, v15, 0
	v_mov_b32_e32 v1, v4
	s_delay_alu instid0(VALU_DEP_1) | instskip(SKIP_2) | instid1(VALU_DEP_1)
	v_mad_u64_u32 v[47:48], null, s11, v15, v[1:2]
	s_mov_b32 s10, 0x30abee4d
	s_mov_b32 s11, 0x3f343a27
	v_mov_b32_e32 v4, v47
	v_mad_u64_u32 v[47:48], null, s8, v153, 0
	s_delay_alu instid0(VALU_DEP_2) | instskip(NEXT) | instid1(VALU_DEP_2)
	v_lshlrev_b64 v[3:4], 2, v[3:4]
	v_mov_b32_e32 v1, v48
	s_delay_alu instid0(VALU_DEP_1) | instskip(NEXT) | instid1(VALU_DEP_3)
	v_mad_u64_u32 v[48:49], null, s9, v153, v[1:2]
	v_add_co_u32 v1, vcc_lo, s0, v3
	s_delay_alu instid0(VALU_DEP_4) | instskip(SKIP_1) | instid1(VALU_DEP_4)
	v_add_co_ci_u32_e32 v15, vcc_lo, s1, v4, vcc_lo
	v_lshrrev_b32_e32 v49, 16, v188
	v_lshlrev_b64 v[3:4], 2, v[47:48]
	s_delay_alu instid0(VALU_DEP_1) | instskip(SKIP_1) | instid1(VALU_DEP_3)
	v_add_co_u32 v3, vcc_lo, v1, v3
	v_lshrrev_b32_e32 v1, 16, v2
	v_add_co_ci_u32_e32 v4, vcc_lo, v15, v4, vcc_lo
	s_delay_alu instid0(VALU_DEP_2) | instskip(SKIP_1) | instid1(VALU_DEP_2)
	v_mul_f16_e32 v15, v43, v1
	v_mul_f16_e32 v43, v43, v2
	v_fmac_f16_e64 v15, v186, v2
	s_delay_alu instid0(VALU_DEP_2) | instskip(SKIP_4) | instid1(VALU_DEP_2)
	v_fma_f16 v43, v186, v1, -v43
	ds_load_2addr_b32 v[1:2], v132 offset0:120 offset1:228
	s_waitcnt lgkmcnt(0)
	v_lshrrev_b32_e32 v47, 16, v1
	v_mul_f16_e32 v48, v49, v1
	v_mul_f16_e32 v49, v49, v47
	s_delay_alu instid0(VALU_DEP_2) | instskip(NEXT) | instid1(VALU_DEP_2)
	v_fma_f16 v47, v188, v47, -v48
	v_fmac_f16_e64 v49, v188, v1
	v_lshrrev_b32_e32 v1, 16, v2
	s_delay_alu instid0(VALU_DEP_1) | instskip(SKIP_1) | instid1(VALU_DEP_2)
	v_mul_f16_e32 v48, v50, v1
	v_mul_f16_e32 v50, v50, v2
	v_fmac_f16_e64 v48, v191, v2
	s_delay_alu instid0(VALU_DEP_2) | instskip(SKIP_4) | instid1(VALU_DEP_2)
	v_fma_f16 v50, v191, v1, -v50
	ds_load_2addr_b32 v[1:2], v185 offset0:80 offset1:188
	s_waitcnt lgkmcnt(0)
	v_lshrrev_b32_e32 v51, 16, v2
	v_mul_f16_e32 v52, v53, v2
	v_mul_f16_e32 v53, v53, v51
	s_delay_alu instid0(VALU_DEP_2) | instskip(NEXT) | instid1(VALU_DEP_2)
	v_fma_f16 v51, v174, v51, -v52
	v_fmac_f16_e64 v53, v174, v2
	v_lshrrev_b32_e32 v2, 16, v1
	s_delay_alu instid0(VALU_DEP_1) | instskip(SKIP_1) | instid1(VALU_DEP_2)
	v_mul_f16_e32 v52, v54, v2
	v_mul_f16_e32 v54, v54, v1
	v_fmac_f16_e64 v52, v192, v1
	v_add_f16_e32 v1, v8, v12
	s_delay_alu instid0(VALU_DEP_3) | instskip(SKIP_1) | instid1(VALU_DEP_3)
	v_fma_f16 v2, v192, v2, -v54
	v_lshrrev_b32_e32 v54, 16, v0
	v_fmac_f16_e32 v0, -0.5, v1
	v_add_f16_e32 v1, v14, v51
	s_delay_alu instid0(VALU_DEP_1) | instskip(SKIP_1) | instid1(VALU_DEP_1)
	v_fmac_f16_e32 v7, -0.5, v1
	v_add_f16_e32 v1, v42, v53
	v_fmac_f16_e32 v5, -0.5, v1
	v_sub_f16_e32 v1, v42, v53
	s_delay_alu instid0(VALU_DEP_1) | instskip(SKIP_2) | instid1(VALU_DEP_1)
	v_fmamk_f16 v42, v1, 0x3aee, v7
	v_fmac_f16_e32 v7, 0xbaee, v1
	v_sub_f16_e32 v1, v11, v13
	v_fmamk_f16 v58, v1, 0xbaee, v0
	v_fmac_f16_e32 v0, 0x3aee, v1
	v_sub_f16_e32 v1, v14, v51
	s_delay_alu instid0(VALU_DEP_1) | instskip(SKIP_2) | instid1(VALU_DEP_1)
	v_fmamk_f16 v14, v1, 0xbaee, v5
	v_fmac_f16_e32 v5, 0x3aee, v1
	v_mul_f16_e32 v1, 0xbaee, v7
	v_fmac_f16_e32 v1, -0.5, v5
	s_delay_alu instid0(VALU_DEP_1)
	v_add_f16_e32 v59, v0, v1
	v_sub_f16_e32 v60, v0, v1
	ds_load_2addr_b32 v[0:1], v154 offset1:108
	s_waitcnt lgkmcnt(0)
	v_lshrrev_b32_e32 v62, 16, v1
	v_add_f16_e32 v63, v1, v22
	v_fmac_f16_e32 v1, -0.5, v61
	v_sub_f16_e32 v61, v35, v38
	v_fma_f16 v67, -0.5, v67, v0
	s_delay_alu instid0(VALU_DEP_2) | instskip(SKIP_3) | instid1(VALU_DEP_2)
	v_fmamk_f16 v64, v61, 0xbaee, v1
	v_fmac_f16_e32 v1, 0x3aee, v61
	v_add_f16_e32 v61, v46, v49
	v_sub_f16_e32 v46, v46, v49
	v_fmac_f16_e32 v29, -0.5, v61
	v_add_f16_e32 v61, v45, v47
	v_sub_f16_e32 v45, v45, v47
	v_add_f16_e32 v47, v66, v47
	s_delay_alu instid0(VALU_DEP_3) | instskip(NEXT) | instid1(VALU_DEP_1)
	v_fmac_f16_e32 v32, -0.5, v61
	v_fmamk_f16 v61, v46, 0x3aee, v32
	v_fmac_f16_e32 v32, 0xbaee, v46
	v_fmamk_f16 v46, v45, 0xbaee, v29
	v_fmac_f16_e32 v29, 0x3aee, v45
	s_delay_alu instid0(VALU_DEP_3) | instskip(NEXT) | instid1(VALU_DEP_1)
	v_mul_f16_e32 v45, 0xbaee, v32
	v_fmac_f16_e32 v45, -0.5, v29
	s_delay_alu instid0(VALU_DEP_1) | instskip(SKIP_4) | instid1(VALU_DEP_3)
	v_add_f16_e32 v68, v1, v45
	v_sub_f16_e32 v45, v1, v45
	v_lshrrev_b32_e32 v1, 16, v0
	v_add_f16_e32 v0, v0, v36
	v_sub_f16_e32 v36, v36, v44
	v_add_f16_e32 v70, v1, v37
	v_fmac_f16_e32 v1, -0.5, v69
	v_sub_f16_e32 v37, v37, v39
	v_add_f16_e32 v0, v0, v44
	v_add_f16_e32 v69, v19, v33
	s_delay_alu instid0(VALU_DEP_3)
	v_fmamk_f16 v44, v37, 0xbaee, v67
	v_fmac_f16_e32 v67, 0x3aee, v37
	v_add_f16_e32 v37, v70, v39
	v_fmamk_f16 v39, v36, 0x3aee, v1
	v_fmac_f16_e32 v1, 0xbaee, v36
	v_add_f16_e32 v36, v33, v15
	v_add_f16_e32 v70, v24, v34
	s_delay_alu instid0(VALU_DEP_2) | instskip(SKIP_1) | instid1(VALU_DEP_1)
	v_fmac_f16_e32 v19, -0.5, v36
	v_add_f16_e32 v36, v34, v43
	v_fmac_f16_e32 v24, -0.5, v36
	v_add_f16_e32 v36, v69, v15
	v_sub_f16_e32 v15, v33, v15
	v_sub_f16_e32 v33, v34, v43
	s_delay_alu instid0(VALU_DEP_1) | instskip(SKIP_4) | instid1(VALU_DEP_2)
	v_fmamk_f16 v34, v33, 0xbaee, v19
	v_fmac_f16_e32 v19, 0x3aee, v33
	v_add_f16_e32 v33, v70, v43
	v_fmamk_f16 v43, v15, 0x3aee, v24
	v_fmac_f16_e32 v24, 0xbaee, v15
	v_mul_f16_e32 v15, 0xbaee, v43
	v_mul_f16_e32 v43, 0.5, v43
	s_delay_alu instid0(VALU_DEP_2) | instskip(NEXT) | instid1(VALU_DEP_2)
	v_fmac_f16_e32 v15, 0.5, v34
	v_fmac_f16_e32 v43, 0x3aee, v34
	v_mul_f16_e32 v34, 0xbaee, v24
	v_mul_f16_e32 v24, -0.5, v24
	s_delay_alu instid0(VALU_DEP_2) | instskip(NEXT) | instid1(VALU_DEP_2)
	v_fmac_f16_e32 v34, -0.5, v19
	v_fmac_f16_e32 v24, 0x3aee, v19
	v_add_f16_e32 v19, v0, v36
	v_sub_f16_e32 v0, v0, v36
	v_add_f16_e32 v36, v44, v15
	v_sub_f16_e32 v15, v44, v15
	;; [unrolled: 2-line block ×6, first 2 shown]
	v_pack_b32_f16 v33, v0, v33
	v_add_f16_e32 v0, v62, v35
	v_add_f16_e32 v24, v65, v49
	v_pack_b32_f16 v36, v36, v37
	v_pack_b32_f16 v37, v44, v43
	;; [unrolled: 1-line block ×3, first 2 shown]
	v_add_f16_e32 v39, v63, v30
	v_add_f16_e32 v43, v0, v38
	v_pack_b32_f16 v34, v34, v1
	v_pack_b32_f16 v19, v19, v67
	ds_store_b32 v154, v36 offset:2160
	v_add_f16_e32 v0, v39, v24
	v_add_f16_e32 v1, v43, v47
	;; [unrolled: 1-line block ×4, first 2 shown]
	s_delay_alu instid0(VALU_DEP_3)
	v_pack_b32_f16 v44, v0, v1
	ds_load_2addr_b32 v[0:1], v240 offset0:88 offset1:196
	ds_store_b32 v154, v37 offset:4320
	ds_store_b32 v154, v33 offset:6480
	;; [unrolled: 1-line block ×4, first 2 shown]
	ds_store_2addr_b32 v154, v19, v44 offset1:108
	v_add_f16_e32 v15, v35, v38
	v_add_f16_e32 v37, v18, v40
	s_delay_alu instid0(VALU_DEP_2) | instskip(SKIP_3) | instid1(VALU_DEP_3)
	v_fmac_f16_e32 v62, -0.5, v15
	v_sub_f16_e32 v15, v22, v30
	v_mul_f16_e32 v22, 0.5, v61
	v_mul_f16_e32 v30, -0.5, v32
	v_fmamk_f16 v19, v15, 0x3aee, v62
	s_delay_alu instid0(VALU_DEP_3)
	v_fmac_f16_e32 v22, 0x3aee, v46
	v_fmac_f16_e32 v62, 0xbaee, v15
	v_mul_f16_e32 v15, 0xbaee, v61
	v_add_f16_e32 v61, v6, v27
	v_fmac_f16_e32 v30, 0x3aee, v29
	v_add_f16_e32 v32, v19, v22
	v_sub_f16_e32 v19, v19, v22
	v_add_f16_e32 v22, v10, v16
	s_waitcnt lgkmcnt(5)
	v_lshrrev_b32_e32 v33, 16, v1
	v_add_f16_e32 v34, v1, v10
	v_fmac_f16_e32 v15, 0.5, v46
	v_add_f16_e32 v46, v25, v21
	v_fmac_f16_e32 v1, -0.5, v22
	v_sub_f16_e32 v22, v26, v28
	s_delay_alu instid0(VALU_DEP_4) | instskip(SKIP_1) | instid1(VALU_DEP_3)
	v_add_f16_e32 v29, v64, v15
	v_sub_f16_e32 v15, v64, v15
	v_fmamk_f16 v35, v22, 0xbaee, v1
	v_fmac_f16_e32 v1, 0x3aee, v22
	v_add_f16_e32 v22, v41, v52
	s_delay_alu instid0(VALU_DEP_4) | instskip(SKIP_1) | instid1(VALU_DEP_3)
	v_pack_b32_f16 v15, v15, v19
	v_pack_b32_f16 v19, v29, v32
	v_fmac_f16_e32 v17, -0.5, v22
	v_add_f16_e32 v22, v40, v2
	s_delay_alu instid0(VALU_DEP_1) | instskip(SKIP_2) | instid1(VALU_DEP_2)
	v_fmac_f16_e32 v18, -0.5, v22
	v_sub_f16_e32 v22, v41, v52
	v_add_f16_e32 v41, v23, v20
	v_fmamk_f16 v38, v22, 0x3aee, v18
	v_fmac_f16_e32 v18, 0xbaee, v22
	v_sub_f16_e32 v22, v40, v2
	s_delay_alu instid0(VALU_DEP_4) | instskip(SKIP_1) | instid1(VALU_DEP_3)
	v_fma_f16 v41, -0.5, v41, v0
	v_add_f16_e32 v2, v37, v2
	v_fmamk_f16 v40, v22, 0xbaee, v17
	v_fmac_f16_e32 v17, 0x3aee, v22
	v_mul_f16_e32 v22, 0xbaee, v18
	s_delay_alu instid0(VALU_DEP_1) | instskip(NEXT) | instid1(VALU_DEP_1)
	v_fmac_f16_e32 v22, -0.5, v17
	v_add_f16_e32 v44, v1, v22
	v_sub_f16_e32 v1, v1, v22
	v_lshrrev_b32_e32 v22, 16, v0
	v_add_f16_e32 v0, v0, v23
	v_sub_f16_e32 v23, v23, v20
	s_delay_alu instid0(VALU_DEP_3)
	v_add_f16_e32 v49, v22, v25
	v_fmac_f16_e32 v22, -0.5, v46
	v_add_f16_e32 v46, v27, v48
	v_sub_f16_e32 v27, v27, v48
	v_sub_f16_e32 v25, v25, v21
	v_add_f16_e32 v0, v0, v20
	v_fmamk_f16 v32, v23, 0x3aee, v22
	v_fmac_f16_e32 v6, -0.5, v46
	v_add_f16_e32 v46, v31, v50
	v_sub_f16_e32 v31, v31, v50
	v_fmamk_f16 v29, v25, 0xbaee, v41
	v_add_f16_e32 v20, v49, v21
	v_add_f16_e32 v21, v61, v48
	v_fmac_f16_e32 v9, -0.5, v46
	v_fmamk_f16 v65, v31, 0xbaee, v6
	v_fmac_f16_e32 v6, 0x3aee, v31
	v_fmac_f16_e32 v41, 0x3aee, v25
	;; [unrolled: 1-line block ×3, first 2 shown]
	v_fmamk_f16 v46, v27, 0x3aee, v9
	v_fmac_f16_e32 v9, 0xbaee, v27
	s_delay_alu instid0(VALU_DEP_2) | instskip(SKIP_1) | instid1(VALU_DEP_2)
	v_mul_f16_e32 v64, 0xbaee, v46
	v_mul_f16_e32 v46, 0.5, v46
	v_fmac_f16_e32 v64, 0.5, v65
	s_delay_alu instid0(VALU_DEP_2) | instskip(SKIP_1) | instid1(VALU_DEP_3)
	v_fmac_f16_e32 v46, 0x3aee, v65
	v_add_f16_e32 v65, v62, v30
	v_add_f16_e32 v66, v29, v64
	s_delay_alu instid0(VALU_DEP_3) | instskip(NEXT) | instid1(VALU_DEP_3)
	v_add_f16_e32 v67, v32, v46
	v_pack_b32_f16 v65, v68, v65
	s_delay_alu instid0(VALU_DEP_2)
	v_pack_b32_f16 v66, v66, v67
	ds_store_b32 v154, v65 offset:4752
	ds_store_b32 v154, v15 offset:9072
	ds_store_2addr_b32 v126, v19, v66 offset0:136 offset1:244
	v_sub_f16_e32 v15, v39, v24
	v_sub_f16_e32 v19, v43, v47
	v_add_f16_e32 v24, v63, v50
	s_delay_alu instid0(VALU_DEP_2) | instskip(SKIP_1) | instid1(VALU_DEP_3)
	v_pack_b32_f16 v15, v15, v19
	v_sub_f16_e32 v19, v0, v21
	v_sub_f16_e32 v39, v20, v24
	v_add_f16_e32 v0, v0, v21
	s_delay_alu instid0(VALU_DEP_2) | instskip(SKIP_4) | instid1(VALU_DEP_3)
	v_pack_b32_f16 v19, v19, v39
	ds_store_2addr_b32 v133, v15, v19 offset0:64 offset1:172
	v_mul_f16_e32 v19, 0xbaee, v9
	v_mul_f16_e32 v9, -0.5, v9
	v_sub_f16_e32 v15, v62, v30
	v_fmac_f16_e32 v19, -0.5, v6
	s_delay_alu instid0(VALU_DEP_3) | instskip(NEXT) | instid1(VALU_DEP_3)
	v_fmac_f16_e32 v9, 0x3aee, v6
	v_pack_b32_f16 v6, v45, v15
	s_delay_alu instid0(VALU_DEP_3) | instskip(NEXT) | instid1(VALU_DEP_3)
	v_sub_f16_e32 v15, v41, v19
	v_sub_f16_e32 v23, v22, v9
	v_add_f16_e32 v9, v22, v9
	s_delay_alu instid0(VALU_DEP_2) | instskip(SKIP_4) | instid1(VALU_DEP_3)
	v_pack_b32_f16 v15, v15, v23
	ds_store_2addr_b32 v132, v6, v15 offset0:120 offset1:228
	v_add_f16_e32 v6, v20, v24
	v_add_f16_e32 v20, v33, v26
	;; [unrolled: 1-line block ×3, first 2 shown]
	v_pack_b32_f16 v0, v0, v6
	v_add_f16_e32 v6, v34, v16
	s_delay_alu instid0(VALU_DEP_4) | instskip(NEXT) | instid1(VALU_DEP_2)
	v_add_f16_e32 v20, v20, v28
	v_add_f16_e32 v21, v6, v15
	s_delay_alu instid0(VALU_DEP_2)
	v_add_f16_e32 v23, v20, v2
	v_sub_f16_e32 v6, v6, v15
	v_mul_f16_e32 v15, 0xbaee, v38
	v_sub_f16_e32 v2, v20, v2
	v_add_f16_e32 v20, v54, v11
	v_pack_b32_f16 v21, v21, v23
	s_delay_alu instid0(VALU_DEP_4) | instskip(NEXT) | instid1(VALU_DEP_4)
	v_fmac_f16_e32 v15, 0.5, v40
	v_pack_b32_f16 v2, v6, v2
	s_delay_alu instid0(VALU_DEP_4) | instskip(SKIP_3) | instid1(VALU_DEP_2)
	v_add_f16_e32 v20, v20, v13
	ds_store_2addr_b32 v240, v0, v21 offset0:88 offset1:196
	v_add_f16_e32 v0, v26, v28
	v_sub_f16_e32 v6, v35, v15
	v_fmac_f16_e32 v33, -0.5, v0
	v_sub_f16_e32 v0, v10, v16
	v_add_f16_e32 v10, v41, v19
	v_add_f16_e32 v19, v55, v12
	s_delay_alu instid0(VALU_DEP_3) | instskip(SKIP_4) | instid1(VALU_DEP_3)
	v_fmamk_f16 v16, v0, 0x3aee, v33
	v_fmac_f16_e32 v33, 0xbaee, v0
	v_mul_f16_e32 v0, -0.5, v18
	v_pack_b32_f16 v9, v10, v9
	v_add_f16_e32 v18, v56, v51
	v_fmac_f16_e32 v0, 0x3aee, v17
	v_mul_f16_e32 v17, 0.5, v38
	s_delay_alu instid0(VALU_DEP_3) | instskip(NEXT) | instid1(VALU_DEP_3)
	v_add_f16_e32 v22, v20, v18
	v_add_f16_e32 v10, v33, v0
	s_delay_alu instid0(VALU_DEP_3) | instskip(SKIP_1) | instid1(VALU_DEP_3)
	v_fmac_f16_e32 v17, 0x3aee, v40
	v_sub_f16_e32 v0, v33, v0
	v_pack_b32_f16 v10, v44, v10
	s_delay_alu instid0(VALU_DEP_2) | instskip(SKIP_3) | instid1(VALU_DEP_1)
	v_pack_b32_f16 v0, v1, v0
	ds_store_2addr_b32 v138, v9, v10 offset0:16 offset1:124
	v_sub_f16_e32 v9, v29, v64
	v_sub_f16_e32 v10, v32, v46
	v_pack_b32_f16 v9, v9, v10
	v_sub_f16_e32 v10, v16, v17
	s_delay_alu instid0(VALU_DEP_1)
	v_pack_b32_f16 v6, v6, v10
	ds_store_b32 v154, v2 offset:7776
	ds_store_2addr_b32 v150, v9, v6 offset0:72 offset1:180
	v_add_f16_e32 v2, v11, v13
	v_mul_f16_e32 v11, 0.5, v42
	v_add_f16_e32 v10, v57, v53
	v_add_f16_e32 v6, v35, v15
	;; [unrolled: 1-line block ×3, first 2 shown]
	v_fmac_f16_e32 v54, -0.5, v2
	v_sub_f16_e32 v2, v8, v12
	v_mul_f16_e32 v8, 0xbaee, v42
	v_fmac_f16_e32 v11, 0x3aee, v14
	v_add_f16_e32 v21, v19, v10
	v_pack_b32_f16 v6, v6, v9
	v_fmamk_f16 v1, v2, 0x3aee, v54
	v_fmac_f16_e32 v8, 0.5, v14
	v_fmac_f16_e32 v54, 0xbaee, v2
	v_pack_b32_f16 v21, v21, v22
	v_sub_f16_e32 v2, v19, v10
	v_add_f16_e32 v12, v1, v11
	v_add_f16_e32 v9, v58, v8
	v_sub_f16_e32 v1, v1, v11
	s_delay_alu instid0(VALU_DEP_2)
	v_pack_b32_f16 v9, v9, v12
	ds_store_b32 v154, v0 offset:12096
	ds_store_b32 v154, v21 offset:1728
	ds_store_2addr_b32 v100, v6, v9 offset0:96 offset1:204
	v_mul_f16_e32 v0, -0.5, v7
	v_sub_f16_e32 v6, v20, v18
	s_delay_alu instid0(VALU_DEP_2) | instskip(SKIP_1) | instid1(VALU_DEP_3)
	v_fmac_f16_e32 v0, 0x3aee, v5
	v_sub_f16_e32 v5, v58, v8
	v_pack_b32_f16 v2, v2, v6
	s_delay_alu instid0(VALU_DEP_3) | instskip(SKIP_1) | instid1(VALU_DEP_4)
	v_add_f16_e32 v7, v54, v0
	v_sub_f16_e32 v0, v54, v0
	v_pack_b32_f16 v1, v5, v1
	s_delay_alu instid0(VALU_DEP_3) | instskip(NEXT) | instid1(VALU_DEP_3)
	v_pack_b32_f16 v7, v59, v7
	v_pack_b32_f16 v0, v60, v0
	ds_store_b32 v154, v7 offset:6048
	ds_store_b32 v154, v2 offset:8208
	;; [unrolled: 1-line block ×4, first 2 shown]
	s_waitcnt lgkmcnt(0)
	s_barrier
	buffer_gl0_inv
	s_clause 0x3
	scratch_load_b32 v17, off, off offset:240
	scratch_load_b32 v18, off, off offset:244
	;; [unrolled: 1-line block ×4, first 2 shown]
	ds_load_2addr_b32 v[5:6], v154 offset1:108
	ds_load_2addr_b32 v[12:13], v162 offset0:56 offset1:164
	s_clause 0xb
	scratch_load_b32 v23, off, off offset:208
	scratch_load_b32 v24, off, off offset:212
	;; [unrolled: 1-line block ×12, first 2 shown]
	s_waitcnt lgkmcnt(1)
	v_lshrrev_b32_e32 v14, 16, v5
	s_waitcnt lgkmcnt(0)
	v_lshrrev_b32_e32 v20, 16, v12
	s_waitcnt vmcnt(15)
	v_mul_f16_e32 v0, v17, v5
	s_waitcnt vmcnt(14)
	s_delay_alu instid0(VALU_DEP_1) | instskip(NEXT) | instid1(VALU_DEP_1)
	v_fma_f16 v0, v18, v14, -v0
	v_cvt_f32_f16_e32 v0, v0
	s_delay_alu instid0(VALU_DEP_1) | instskip(NEXT) | instid1(VALU_DEP_1)
	v_cvt_f64_f32_e32 v[0:1], v0
	v_mul_f64 v[7:8], v[0:1], s[10:11]
	s_delay_alu instid0(VALU_DEP_1) | instskip(SKIP_2) | instid1(VALU_DEP_3)
	v_and_or_b32 v0, 0x1ff, v8, v7
	v_lshrrev_b32_e32 v1, 8, v8
	v_bfe_u32 v15, v8, 20, 11
	v_cmp_ne_u32_e32 vcc_lo, 0, v0
	v_cndmask_b32_e64 v0, 0, 1, vcc_lo
	s_delay_alu instid0(VALU_DEP_1) | instskip(NEXT) | instid1(VALU_DEP_4)
	v_and_or_b32 v7, 0xffe, v1, v0
	v_sub_nc_u32_e32 v0, 0x3f1, v15
	s_delay_alu instid0(VALU_DEP_2) | instskip(NEXT) | instid1(VALU_DEP_2)
	v_or_b32_e32 v1, 0x1000, v7
	v_med3_i32 v0, v0, 0, 13
	s_delay_alu instid0(VALU_DEP_1) | instskip(NEXT) | instid1(VALU_DEP_1)
	v_lshrrev_b32_e32 v16, v0, v1
	v_lshlrev_b32_e32 v0, v0, v16
	s_delay_alu instid0(VALU_DEP_1) | instskip(SKIP_3) | instid1(VALU_DEP_1)
	v_cmp_ne_u32_e32 vcc_lo, v0, v1
	s_waitcnt vmcnt(13)
	v_mul_f16_e32 v0, v25, v12
	s_waitcnt vmcnt(12)
	v_fma_f16 v0, v26, v20, -v0
	v_mul_f16_e32 v20, v25, v20
	s_delay_alu instid0(VALU_DEP_2) | instskip(NEXT) | instid1(VALU_DEP_2)
	v_cvt_f32_f16_e32 v0, v0
	v_fmac_f16_e32 v20, v26, v12
	s_delay_alu instid0(VALU_DEP_2) | instskip(NEXT) | instid1(VALU_DEP_1)
	v_cvt_f64_f32_e32 v[0:1], v0
	v_mul_f64 v[1:2], v[0:1], s[10:11]
	s_delay_alu instid0(VALU_DEP_1) | instskip(SKIP_3) | instid1(VALU_DEP_4)
	v_and_or_b32 v0, 0x1ff, v2, v1
	v_lshrrev_b32_e32 v1, 8, v2
	v_bfe_u32 v10, v2, 20, 11
	v_lshrrev_b32_e32 v2, 16, v2
	v_cmp_ne_u32_e64 s0, 0, v0
	s_delay_alu instid0(VALU_DEP_1) | instskip(NEXT) | instid1(VALU_DEP_1)
	v_cndmask_b32_e64 v0, 0, 1, s0
	v_and_or_b32 v9, 0xffe, v1, v0
	v_sub_nc_u32_e32 v0, 0x3f1, v10
	v_add_nc_u32_e32 v10, 0xfffffc10, v10
	s_delay_alu instid0(VALU_DEP_3) | instskip(NEXT) | instid1(VALU_DEP_3)
	v_or_b32_e32 v1, 0x1000, v9
	v_med3_i32 v0, v0, 0, 13
	s_delay_alu instid0(VALU_DEP_3) | instskip(NEXT) | instid1(VALU_DEP_2)
	v_cmp_gt_i32_e64 s4, 1, v10
	v_lshrrev_b32_e32 v11, v0, v1
	s_delay_alu instid0(VALU_DEP_1) | instskip(NEXT) | instid1(VALU_DEP_1)
	v_lshlrev_b32_e32 v0, v0, v11
	v_cmp_ne_u32_e64 s0, v0, v1
	v_mul_f16_e32 v0, v17, v14
	s_clause 0x1
	scratch_load_b32 v14, off, off offset:228
	scratch_load_b32 v17, off, off offset:224
	v_lshrrev_b32_e32 v1, 16, v6
	v_fmac_f16_e32 v0, v18, v5
	s_delay_alu instid0(VALU_DEP_1) | instskip(SKIP_1) | instid1(VALU_DEP_3)
	v_cvt_f32_f16_e32 v0, v0
	s_waitcnt vmcnt(1)
	v_mul_f16_e32 v5, v14, v1
	v_mul_f16_e32 v14, v14, v6
	s_waitcnt vmcnt(0)
	s_delay_alu instid0(VALU_DEP_2) | instskip(NEXT) | instid1(VALU_DEP_2)
	v_fmac_f16_e32 v5, v17, v6
	v_fma_f16 v6, v17, v1, -v14
	v_cvt_f64_f32_e32 v[0:1], v0
	s_delay_alu instid0(VALU_DEP_3) | instskip(NEXT) | instid1(VALU_DEP_2)
	v_cvt_f32_f16_e32 v5, v5
	v_mul_f64 v[0:1], v[0:1], s[10:11]
	s_delay_alu instid0(VALU_DEP_1) | instskip(SKIP_1) | instid1(VALU_DEP_2)
	v_and_or_b32 v0, 0x1ff, v1, v0
	v_lshrrev_b32_e32 v14, 8, v1
	v_cmp_ne_u32_e64 s1, 0, v0
	s_delay_alu instid0(VALU_DEP_1) | instskip(NEXT) | instid1(VALU_DEP_1)
	v_cndmask_b32_e64 v0, 0, 1, s1
	v_and_or_b32 v0, 0xffe, v14, v0
	v_bfe_u32 v14, v1, 20, 11
	v_lshrrev_b32_e32 v1, 16, v1
	s_delay_alu instid0(VALU_DEP_3) | instskip(NEXT) | instid1(VALU_DEP_3)
	v_or_b32_e32 v18, 0x1000, v0
	v_sub_nc_u32_e32 v17, 0x3f1, v14
	v_add_nc_u32_e32 v14, 0xfffffc10, v14
	s_delay_alu instid0(VALU_DEP_2) | instskip(NEXT) | instid1(VALU_DEP_1)
	v_med3_i32 v17, v17, 0, 13
	v_lshrrev_b32_e32 v19, v17, v18
	s_delay_alu instid0(VALU_DEP_1) | instskip(NEXT) | instid1(VALU_DEP_1)
	v_lshlrev_b32_e32 v17, v17, v19
	v_cmp_ne_u32_e64 s1, v17, v18
	v_lshl_or_b32 v18, v14, 12, v0
	s_delay_alu instid0(VALU_DEP_2) | instskip(SKIP_1) | instid1(VALU_DEP_2)
	v_cndmask_b32_e64 v17, 0, 1, s1
	v_cmp_gt_i32_e64 s1, 1, v14
	v_or_b32_e32 v17, v19, v17
	s_delay_alu instid0(VALU_DEP_1) | instskip(NEXT) | instid1(VALU_DEP_1)
	v_cndmask_b32_e64 v17, v18, v17, s1
	v_and_b32_e32 v18, 7, v17
	s_delay_alu instid0(VALU_DEP_1) | instskip(SKIP_4) | instid1(VALU_DEP_4)
	v_cmp_lt_i32_e64 s1, 5, v18
	v_cmp_eq_u32_e64 s2, 3, v18
	v_cndmask_b32_e64 v18, 0, 1, vcc_lo
	v_cmp_ne_u32_e32 vcc_lo, 0, v0
	v_add_nc_u32_e32 v0, 0xfffffc10, v15
	s_or_b32 s1, s2, s1
	s_delay_alu instid0(VALU_DEP_3) | instskip(SKIP_1) | instid1(VALU_DEP_3)
	v_or_b32_e32 v16, v16, v18
	v_cmp_ne_u32_e64 s2, 0, v7
	v_lshl_or_b32 v15, v0, 12, v7
	v_cmp_gt_i32_e64 s3, 1, v0
	s_delay_alu instid0(VALU_DEP_1) | instskip(SKIP_3) | instid1(VALU_DEP_4)
	v_cndmask_b32_e64 v15, v15, v16, s3
	v_lshrrev_b32_e32 v16, 2, v17
	v_cndmask_b32_e64 v17, 0, 1, vcc_lo
	v_cmp_eq_u32_e32 vcc_lo, 0x40f, v14
	v_lshrrev_b32_e32 v7, 2, v15
	s_delay_alu instid0(VALU_DEP_4) | instskip(SKIP_2) | instid1(VALU_DEP_2)
	v_add_co_ci_u32_e64 v16, s1, 0, v16, s1
	v_cmp_gt_i32_e64 s1, 31, v14
	v_lshl_or_b32 v17, v17, 9, 0x7c00
	v_cndmask_b32_e64 v16, 0x7c00, v16, s1
	s_delay_alu instid0(VALU_DEP_1) | instskip(SKIP_2) | instid1(VALU_DEP_3)
	v_cndmask_b32_e32 v14, v16, v17, vcc_lo
	v_and_b32_e32 v16, 7, v15
	v_cndmask_b32_e64 v15, 0, 1, s2
	v_and_or_b32 v1, 0x8000, v1, v14
	s_delay_alu instid0(VALU_DEP_3) | instskip(SKIP_1) | instid1(VALU_DEP_4)
	v_cmp_lt_i32_e32 vcc_lo, 5, v16
	v_cmp_eq_u32_e64 s1, 3, v16
	v_lshl_or_b32 v15, v15, 9, 0x7c00
	ds_load_2addr_b32 v[16:17], v161 offset0:112 offset1:220
	v_and_b32_e32 v1, 0xffff, v1
	s_or_b32 vcc_lo, s1, vcc_lo
	s_mul_i32 s1, s9, 0x10e0
	v_add_co_ci_u32_e32 v7, vcc_lo, 0, v7, vcc_lo
	v_cmp_gt_i32_e32 vcc_lo, 31, v0
	s_add_i32 s7, s7, s1
	s_delay_alu instid0(VALU_DEP_2) | instskip(SKIP_1) | instid1(VALU_DEP_2)
	v_cndmask_b32_e32 v7, 0x7c00, v7, vcc_lo
	v_cmp_eq_u32_e32 vcc_lo, 0x40f, v0
	v_cndmask_b32_e32 v0, v7, v15, vcc_lo
	v_lshrrev_b32_e32 v7, 16, v8
	s_waitcnt lgkmcnt(0)
	v_lshrrev_b32_e32 v8, 16, v16
	v_add_co_u32 v14, vcc_lo, v3, s12
	v_add_co_ci_u32_e32 v15, vcc_lo, s7, v4, vcc_lo
	v_and_or_b32 v0, 0x8000, v7, v0
	s_delay_alu instid0(VALU_DEP_1)
	v_lshl_or_b32 v0, v0, 16, v1
	global_store_b32 v[3:4], v0, off
	v_mul_f16_e32 v0, v23, v16
	scratch_load_b32 v3, off, off offset:200 ; 4-byte Folded Reload
	v_mul_f16_e32 v23, v23, v8
	v_fma_f16 v0, v24, v8, -v0
	s_delay_alu instid0(VALU_DEP_2) | instskip(SKIP_1) | instid1(VALU_DEP_3)
	v_fmac_f16_e32 v23, v24, v16
	v_lshrrev_b32_e32 v16, 16, v17
	v_cvt_f32_f16_e32 v0, v0
	s_delay_alu instid0(VALU_DEP_1) | instskip(NEXT) | instid1(VALU_DEP_1)
	v_cvt_f64_f32_e32 v[0:1], v0
	v_mul_f64 v[18:19], v[0:1], s[10:11]
	s_delay_alu instid0(VALU_DEP_1) | instskip(SKIP_2) | instid1(VALU_DEP_3)
	v_and_or_b32 v0, 0x1ff, v19, v18
	v_lshrrev_b32_e32 v1, 8, v19
	v_bfe_u32 v21, v19, 20, 11
	v_cmp_ne_u32_e32 vcc_lo, 0, v0
	v_cndmask_b32_e64 v0, 0, 1, vcc_lo
	s_delay_alu instid0(VALU_DEP_1) | instskip(NEXT) | instid1(VALU_DEP_4)
	v_and_or_b32 v18, 0xffe, v1, v0
	v_sub_nc_u32_e32 v0, 0x3f1, v21
	s_delay_alu instid0(VALU_DEP_2) | instskip(NEXT) | instid1(VALU_DEP_2)
	v_or_b32_e32 v1, 0x1000, v18
	v_med3_i32 v0, v0, 0, 13
	s_delay_alu instid0(VALU_DEP_1) | instskip(NEXT) | instid1(VALU_DEP_1)
	v_lshrrev_b32_e32 v22, v0, v1
	v_lshlrev_b32_e32 v0, v0, v22
	s_delay_alu instid0(VALU_DEP_1) | instskip(SKIP_3) | instid1(VALU_DEP_1)
	v_cmp_ne_u32_e64 s1, v0, v1
	scratch_load_b32 v1, off, off offset:204 ; 4-byte Folded Reload
	v_lshrrev_b32_e32 v0, 16, v13
	s_waitcnt vmcnt(0)
	v_mul_f16_e32 v4, v1, v0
	v_mul_f16_e32 v1, v1, v13
	s_delay_alu instid0(VALU_DEP_2) | instskip(NEXT) | instid1(VALU_DEP_2)
	v_fmac_f16_e32 v4, v3, v13
	v_fma_f16 v3, v3, v0, -v1
	v_cvt_f32_f16_e32 v0, v6
	s_delay_alu instid0(VALU_DEP_3) | instskip(NEXT) | instid1(VALU_DEP_2)
	v_cvt_f32_f16_e32 v4, v4
	v_cvt_f64_f32_e32 v[0:1], v0
	s_delay_alu instid0(VALU_DEP_1) | instskip(NEXT) | instid1(VALU_DEP_1)
	v_mul_f64 v[0:1], v[0:1], s[10:11]
	v_and_or_b32 v0, 0x1ff, v1, v0
	v_lshrrev_b32_e32 v6, 8, v1
	s_delay_alu instid0(VALU_DEP_2) | instskip(SKIP_1) | instid1(VALU_DEP_1)
	v_cmp_ne_u32_e32 vcc_lo, 0, v0
	v_cndmask_b32_e64 v0, 0, 1, vcc_lo
	v_and_or_b32 v0, 0xffe, v6, v0
	v_bfe_u32 v6, v1, 20, 11
	v_lshrrev_b32_e32 v1, 16, v1
	s_delay_alu instid0(VALU_DEP_3) | instskip(NEXT) | instid1(VALU_DEP_3)
	v_or_b32_e32 v13, 0x1000, v0
	v_sub_nc_u32_e32 v7, 0x3f1, v6
	s_delay_alu instid0(VALU_DEP_1) | instskip(NEXT) | instid1(VALU_DEP_1)
	v_med3_i32 v12, v7, 0, 13
	v_lshrrev_b32_e32 v7, v12, v13
	s_delay_alu instid0(VALU_DEP_1) | instskip(NEXT) | instid1(VALU_DEP_1)
	v_lshlrev_b32_e32 v12, v12, v7
	v_cmp_ne_u32_e32 vcc_lo, v12, v13
	scratch_load_b32 v12, off, off offset:196 ; 4-byte Folded Reload
	s_waitcnt vmcnt(0)
	v_mul_f16_e32 v8, v12, v16
	s_delay_alu instid0(VALU_DEP_1) | instskip(SKIP_2) | instid1(VALU_DEP_3)
	v_fmac_f16_e32 v8, v27, v17
	v_mul_f16_e32 v17, v12, v17
	v_cvt_f32_f16_e32 v12, v20
	v_cvt_f32_f16_e32 v8, v8
	s_delay_alu instid0(VALU_DEP_2) | instskip(NEXT) | instid1(VALU_DEP_1)
	v_cvt_f64_f32_e32 v[12:13], v12
	v_mul_f64 v[12:13], v[12:13], s[10:11]
	s_delay_alu instid0(VALU_DEP_1) | instskip(SKIP_1) | instid1(VALU_DEP_2)
	v_and_or_b32 v12, 0x1ff, v13, v12
	v_lshrrev_b32_e32 v20, 8, v13
	v_cmp_ne_u32_e64 s2, 0, v12
	s_delay_alu instid0(VALU_DEP_1) | instskip(NEXT) | instid1(VALU_DEP_1)
	v_cndmask_b32_e64 v12, 0, 1, s2
	v_and_or_b32 v12, 0xffe, v20, v12
	v_bfe_u32 v20, v13, 20, 11
	v_lshrrev_b32_e32 v13, 16, v13
	s_delay_alu instid0(VALU_DEP_3) | instskip(NEXT) | instid1(VALU_DEP_3)
	v_or_b32_e32 v25, 0x1000, v12
	v_sub_nc_u32_e32 v24, 0x3f1, v20
	v_add_nc_u32_e32 v20, 0xfffffc10, v20
	s_delay_alu instid0(VALU_DEP_2) | instskip(NEXT) | instid1(VALU_DEP_1)
	v_med3_i32 v24, v24, 0, 13
	v_lshrrev_b32_e32 v26, v24, v25
	s_delay_alu instid0(VALU_DEP_1) | instskip(NEXT) | instid1(VALU_DEP_1)
	v_lshlrev_b32_e32 v24, v24, v26
	v_cmp_ne_u32_e64 s2, v24, v25
	v_lshl_or_b32 v25, v20, 12, v12
	s_delay_alu instid0(VALU_DEP_2) | instskip(SKIP_1) | instid1(VALU_DEP_2)
	v_cndmask_b32_e64 v24, 0, 1, s2
	v_cmp_gt_i32_e64 s2, 1, v20
	v_or_b32_e32 v24, v26, v24
	s_delay_alu instid0(VALU_DEP_1) | instskip(NEXT) | instid1(VALU_DEP_1)
	v_cndmask_b32_e64 v24, v25, v24, s2
	v_and_b32_e32 v25, 7, v24
	s_delay_alu instid0(VALU_DEP_1) | instskip(SKIP_4) | instid1(VALU_DEP_4)
	v_cmp_lt_i32_e64 s2, 5, v25
	v_cmp_eq_u32_e64 s3, 3, v25
	v_cndmask_b32_e64 v25, 0, 1, s0
	v_cmp_ne_u32_e64 s0, 0, v12
	v_lshl_or_b32 v12, v10, 12, v9
	s_or_b32 s2, s3, s2
	s_delay_alu instid0(VALU_DEP_3)
	v_or_b32_e32 v11, v11, v25
	v_cmp_ne_u32_e64 s3, 0, v9
	scratch_load_b32 v25, off, off offset:184 ; 4-byte Folded Reload
	v_cndmask_b32_e64 v11, v12, v11, s4
	v_lshrrev_b32_e32 v12, 2, v24
	v_cndmask_b32_e64 v24, 0, 1, s0
	v_cmp_eq_u32_e64 s0, 0x40f, v20
	s_delay_alu instid0(VALU_DEP_4) | instskip(NEXT) | instid1(VALU_DEP_4)
	v_lshrrev_b32_e32 v9, 2, v11
	v_add_co_ci_u32_e64 v12, s2, 0, v12, s2
	v_cmp_gt_i32_e64 s2, 31, v20
	v_lshl_or_b32 v24, v24, 9, 0x7c00
	v_and_b32_e32 v20, 7, v11
	v_cndmask_b32_e64 v11, 0, 1, s3
	s_delay_alu instid0(VALU_DEP_4) | instskip(NEXT) | instid1(VALU_DEP_3)
	v_cndmask_b32_e64 v12, 0x7c00, v12, s2
	v_cmp_eq_u32_e64 s2, 3, v20
	s_delay_alu instid0(VALU_DEP_3) | instskip(NEXT) | instid1(VALU_DEP_3)
	v_lshl_or_b32 v11, v11, 9, 0x7c00
	v_cndmask_b32_e64 v12, v12, v24, s0
	v_cmp_lt_i32_e64 s0, 5, v20
	s_delay_alu instid0(VALU_DEP_1) | instskip(NEXT) | instid1(SALU_CYCLE_1)
	s_or_b32 s0, s2, s0
	v_add_co_ci_u32_e64 v9, s0, 0, v9, s0
	v_cmp_gt_i32_e64 s0, 31, v10
	s_delay_alu instid0(VALU_DEP_1) | instskip(SKIP_2) | instid1(VALU_DEP_2)
	v_cndmask_b32_e64 v9, 0x7c00, v9, s0
	v_cmp_eq_u32_e64 s0, 0x40f, v10
	v_and_or_b32 v10, 0x8000, v13, v12
	v_cndmask_b32_e64 v9, v9, v11, s0
	s_delay_alu instid0(VALU_DEP_1) | instskip(NEXT) | instid1(VALU_DEP_3)
	v_and_or_b32 v2, 0x8000, v2, v9
	v_and_b32_e32 v9, 0xffff, v10
	s_delay_alu instid0(VALU_DEP_1) | instskip(SKIP_1) | instid1(VALU_DEP_1)
	v_lshl_or_b32 v2, v2, 16, v9
	v_add_co_u32 v9, s0, v14, s12
	v_add_co_ci_u32_e64 v10, s0, s7, v15, s0
	global_store_b32 v[14:15], v2, off
	v_cvt_f32_f16_e32 v2, v23
	v_fma_f16 v14, v27, v16, -v17
	s_delay_alu instid0(VALU_DEP_2) | instskip(NEXT) | instid1(VALU_DEP_1)
	v_cvt_f64_f32_e32 v[11:12], v2
	v_mul_f64 v[11:12], v[11:12], s[10:11]
	s_delay_alu instid0(VALU_DEP_1) | instskip(SKIP_1) | instid1(VALU_DEP_2)
	v_and_or_b32 v2, 0x1ff, v12, v11
	v_lshrrev_b32_e32 v11, 8, v12
	v_cmp_ne_u32_e64 s0, 0, v2
	s_delay_alu instid0(VALU_DEP_1) | instskip(NEXT) | instid1(VALU_DEP_1)
	v_cndmask_b32_e64 v2, 0, 1, s0
	v_and_or_b32 v2, 0xffe, v11, v2
	v_bfe_u32 v11, v12, 20, 11
	s_delay_alu instid0(VALU_DEP_2) | instskip(NEXT) | instid1(VALU_DEP_2)
	v_or_b32_e32 v15, 0x1000, v2
	v_sub_nc_u32_e32 v13, 0x3f1, v11
	v_add_nc_u32_e32 v11, 0xfffffc10, v11
	v_cmp_ne_u32_e64 s2, 0, v2
	s_delay_alu instid0(VALU_DEP_3) | instskip(NEXT) | instid1(VALU_DEP_1)
	v_med3_i32 v13, v13, 0, 13
	v_lshrrev_b32_e32 v16, v13, v15
	s_delay_alu instid0(VALU_DEP_1) | instskip(NEXT) | instid1(VALU_DEP_1)
	v_lshlrev_b32_e32 v13, v13, v16
	v_cmp_ne_u32_e64 s0, v13, v15
	v_lshl_or_b32 v15, v11, 12, v2
	s_delay_alu instid0(VALU_DEP_2) | instskip(SKIP_1) | instid1(VALU_DEP_2)
	v_cndmask_b32_e64 v13, 0, 1, s0
	v_cmp_gt_i32_e64 s0, 1, v11
	v_or_b32_e32 v13, v16, v13
	v_add_nc_u32_e32 v16, 0xfffffc10, v21
	s_delay_alu instid0(VALU_DEP_2) | instskip(SKIP_1) | instid1(VALU_DEP_3)
	v_cndmask_b32_e64 v13, v15, v13, s0
	v_cndmask_b32_e64 v15, 0, 1, s1
	v_lshl_or_b32 v17, v16, 12, v18
	v_cmp_gt_i32_e64 s0, 1, v16
	s_delay_alu instid0(VALU_DEP_3) | instskip(NEXT) | instid1(VALU_DEP_1)
	v_or_b32_e32 v15, v22, v15
	v_cndmask_b32_e64 v15, v17, v15, s0
	v_and_b32_e32 v17, 7, v13
	s_delay_alu instid0(VALU_DEP_2) | instskip(NEXT) | instid1(VALU_DEP_2)
	v_and_b32_e32 v2, 7, v15
	v_cmp_lt_i32_e64 s0, 5, v17
	v_cmp_eq_u32_e64 s1, 3, v17
	s_delay_alu instid0(VALU_DEP_3) | instskip(SKIP_2) | instid1(VALU_DEP_4)
	v_cmp_lt_i32_e64 s3, 5, v2
	v_cmp_eq_u32_e64 s4, 3, v2
	v_lshrrev_b32_e32 v2, 2, v13
	s_or_b32 s0, s1, s0
	v_cndmask_b32_e64 v13, 0, 1, s2
	s_delay_alu instid0(VALU_DEP_3) | instskip(NEXT) | instid1(VALU_DEP_2)
	s_or_b32 s1, s4, s3
	v_add_co_ci_u32_e64 v2, s0, 0, v2, s0
	v_cmp_gt_i32_e64 s0, 31, v11
	s_delay_alu instid0(VALU_DEP_3) | instskip(NEXT) | instid1(VALU_DEP_2)
	v_lshl_or_b32 v13, v13, 9, 0x7c00
	v_cndmask_b32_e64 v2, 0x7c00, v2, s0
	v_cmp_eq_u32_e64 s0, 0x40f, v11
	v_lshrrev_b32_e32 v11, 16, v12
	v_lshrrev_b32_e32 v12, 2, v15
	s_delay_alu instid0(VALU_DEP_3) | instskip(SKIP_1) | instid1(VALU_DEP_3)
	v_cndmask_b32_e64 v2, v2, v13, s0
	v_cmp_ne_u32_e64 s0, 0, v18
	v_add_co_ci_u32_e64 v12, s1, 0, v12, s1
	v_cmp_gt_i32_e64 s1, 31, v16
	s_delay_alu instid0(VALU_DEP_4) | instskip(NEXT) | instid1(VALU_DEP_4)
	v_and_or_b32 v2, 0x8000, v11, v2
	v_cndmask_b32_e64 v13, 0, 1, s0
	v_cmp_eq_u32_e64 s0, 0x40f, v16
	s_delay_alu instid0(VALU_DEP_4) | instskip(NEXT) | instid1(VALU_DEP_4)
	v_cndmask_b32_e64 v12, 0x7c00, v12, s1
	v_and_b32_e32 v2, 0xffff, v2
	s_delay_alu instid0(VALU_DEP_4) | instskip(SKIP_1) | instid1(VALU_DEP_1)
	v_lshl_or_b32 v13, v13, 9, 0x7c00
	s_mul_i32 s1, s9, 0xffffdff0
	v_cndmask_b32_e64 v12, v12, v13, s0
	v_lshrrev_b32_e32 v13, 16, v19
	s_mul_hi_u32 s0, s8, 0xffffdff0
	s_delay_alu instid0(SALU_CYCLE_1) | instskip(SKIP_1) | instid1(VALU_DEP_1)
	s_sub_i32 s9, s0, s8
	s_mulk_i32 s8, 0xdff0
	v_and_or_b32 v11, 0x8000, v13, v12
	s_add_i32 s9, s9, s1
	s_delay_alu instid0(VALU_DEP_1) | instskip(SKIP_3) | instid1(VALU_DEP_1)
	v_lshl_or_b32 v2, v11, 16, v2
	global_store_b32 v[9:10], v2, off
	v_cvt_f32_f16_e32 v2, v3
	v_add_co_u32 v9, s0, v9, s8
	v_add_co_ci_u32_e64 v10, s0, s9, v10, s0
	s_delay_alu instid0(VALU_DEP_3) | instskip(NEXT) | instid1(VALU_DEP_1)
	v_cvt_f64_f32_e32 v[2:3], v2
	v_mul_f64 v[12:13], v[2:3], s[10:11]
	s_delay_alu instid0(VALU_DEP_1) | instskip(SKIP_3) | instid1(VALU_DEP_4)
	v_and_or_b32 v2, 0x1ff, v13, v12
	v_lshrrev_b32_e32 v3, 8, v13
	v_bfe_u32 v17, v13, 20, 11
	v_lshrrev_b32_e32 v13, 16, v13
	v_cmp_ne_u32_e64 s0, 0, v2
	s_delay_alu instid0(VALU_DEP_1) | instskip(NEXT) | instid1(VALU_DEP_1)
	v_cndmask_b32_e64 v2, 0, 1, s0
	v_and_or_b32 v16, 0xffe, v3, v2
	v_sub_nc_u32_e32 v2, 0x3f1, v17
	s_delay_alu instid0(VALU_DEP_2) | instskip(NEXT) | instid1(VALU_DEP_2)
	v_or_b32_e32 v3, 0x1000, v16
	v_med3_i32 v2, v2, 0, 13
	s_delay_alu instid0(VALU_DEP_1) | instskip(NEXT) | instid1(VALU_DEP_1)
	v_lshrrev_b32_e32 v20, v2, v3
	v_lshlrev_b32_e32 v2, v2, v20
	s_delay_alu instid0(VALU_DEP_1) | instskip(SKIP_1) | instid1(VALU_DEP_1)
	v_cmp_ne_u32_e64 s1, v2, v3
	v_cvt_f32_f16_e32 v2, v14
	v_cvt_f64_f32_e32 v[2:3], v2
	s_delay_alu instid0(VALU_DEP_1) | instskip(NEXT) | instid1(VALU_DEP_1)
	v_mul_f64 v[2:3], v[2:3], s[10:11]
	v_and_or_b32 v2, 0x1ff, v3, v2
	v_lshrrev_b32_e32 v11, 8, v3
	s_delay_alu instid0(VALU_DEP_2) | instskip(NEXT) | instid1(VALU_DEP_1)
	v_cmp_ne_u32_e64 s0, 0, v2
	v_cndmask_b32_e64 v2, 0, 1, s0
	s_delay_alu instid0(VALU_DEP_1) | instskip(SKIP_2) | instid1(VALU_DEP_3)
	v_and_or_b32 v2, 0xffe, v11, v2
	v_bfe_u32 v11, v3, 20, 11
	v_lshrrev_b32_e32 v3, 16, v3
	v_or_b32_e32 v15, 0x1000, v2
	s_delay_alu instid0(VALU_DEP_3) | instskip(SKIP_1) | instid1(VALU_DEP_2)
	v_sub_nc_u32_e32 v12, 0x3f1, v11
	v_add_nc_u32_e32 v11, 0xfffffc10, v11
	v_med3_i32 v14, v12, 0, 13
	s_delay_alu instid0(VALU_DEP_1) | instskip(NEXT) | instid1(VALU_DEP_1)
	v_lshrrev_b32_e32 v12, v14, v15
	v_lshlrev_b32_e32 v14, v14, v12
	s_delay_alu instid0(VALU_DEP_1) | instskip(SKIP_1) | instid1(VALU_DEP_1)
	v_cmp_ne_u32_e64 s0, v14, v15
	v_cvt_f64_f32_e32 v[14:15], v5
	v_mul_f64 v[14:15], v[14:15], s[10:11]
	s_delay_alu instid0(VALU_DEP_1) | instskip(SKIP_1) | instid1(VALU_DEP_2)
	v_and_or_b32 v5, 0x1ff, v15, v14
	v_lshrrev_b32_e32 v14, 8, v15
	v_cmp_ne_u32_e64 s2, 0, v5
	s_delay_alu instid0(VALU_DEP_1) | instskip(NEXT) | instid1(VALU_DEP_1)
	v_cndmask_b32_e64 v5, 0, 1, s2
	v_and_or_b32 v5, 0xffe, v14, v5
	v_bfe_u32 v14, v15, 20, 11
	s_delay_alu instid0(VALU_DEP_2) | instskip(NEXT) | instid1(VALU_DEP_2)
	v_or_b32_e32 v19, 0x1000, v5
	v_sub_nc_u32_e32 v18, 0x3f1, v14
	v_add_nc_u32_e32 v14, 0xfffffc10, v14
	s_delay_alu instid0(VALU_DEP_2) | instskip(NEXT) | instid1(VALU_DEP_1)
	v_med3_i32 v18, v18, 0, 13
	v_lshrrev_b32_e32 v21, v18, v19
	s_delay_alu instid0(VALU_DEP_1) | instskip(NEXT) | instid1(VALU_DEP_1)
	v_lshlrev_b32_e32 v18, v18, v21
	v_cmp_ne_u32_e64 s2, v18, v19
	v_lshl_or_b32 v19, v14, 12, v5
	s_delay_alu instid0(VALU_DEP_2) | instskip(SKIP_1) | instid1(VALU_DEP_2)
	v_cndmask_b32_e64 v18, 0, 1, s2
	v_cmp_gt_i32_e64 s2, 1, v14
	v_or_b32_e32 v18, v21, v18
	s_delay_alu instid0(VALU_DEP_1) | instskip(NEXT) | instid1(VALU_DEP_1)
	v_cndmask_b32_e64 v18, v19, v18, s2
	v_and_b32_e32 v19, 7, v18
	s_delay_alu instid0(VALU_DEP_1) | instskip(SKIP_4) | instid1(VALU_DEP_4)
	v_cmp_lt_i32_e64 s2, 5, v19
	v_cmp_eq_u32_e64 s3, 3, v19
	v_cndmask_b32_e64 v19, 0, 1, vcc_lo
	v_cmp_ne_u32_e32 vcc_lo, 0, v5
	v_add_nc_u32_e32 v5, 0xfffffc10, v6
	s_or_b32 s2, s3, s2
	s_delay_alu instid0(VALU_DEP_3) | instskip(SKIP_1) | instid1(VALU_DEP_3)
	v_or_b32_e32 v7, v7, v19
	v_cmp_ne_u32_e64 s3, 0, v0
	v_lshl_or_b32 v6, v5, 12, v0
	v_cmp_gt_i32_e64 s4, 1, v5
	s_delay_alu instid0(VALU_DEP_1) | instskip(SKIP_3) | instid1(VALU_DEP_4)
	v_cndmask_b32_e64 v6, v6, v7, s4
	v_lshrrev_b32_e32 v7, 2, v18
	v_cndmask_b32_e64 v18, 0, 1, vcc_lo
	v_cmp_eq_u32_e32 vcc_lo, 0x40f, v14
	v_lshrrev_b32_e32 v0, 2, v6
	s_delay_alu instid0(VALU_DEP_4)
	v_add_co_ci_u32_e64 v7, s2, 0, v7, s2
	v_cmp_gt_i32_e64 s2, 31, v14
	v_lshl_or_b32 v18, v18, 9, 0x7c00
	v_lshrrev_b32_e32 v14, 16, v15
	v_and_b32_e32 v15, 7, v6
	v_cndmask_b32_e64 v6, 0, 1, s3
	v_cndmask_b32_e64 v7, 0x7c00, v7, s2
	s_delay_alu instid0(VALU_DEP_3) | instskip(NEXT) | instid1(VALU_DEP_3)
	v_cmp_eq_u32_e64 s2, 3, v15
	v_lshl_or_b32 v6, v6, 9, 0x7c00
	s_delay_alu instid0(VALU_DEP_3)
	v_cndmask_b32_e32 v7, v7, v18, vcc_lo
	v_cmp_lt_i32_e32 vcc_lo, 5, v15
	ds_load_2addr_b32 v[18:19], v240 offset0:88 offset1:196
	s_or_b32 vcc_lo, s2, vcc_lo
	v_add_co_ci_u32_e32 v0, vcc_lo, 0, v0, vcc_lo
	v_cmp_gt_i32_e32 vcc_lo, 31, v5
	s_delay_alu instid0(VALU_DEP_2) | instskip(SKIP_2) | instid1(VALU_DEP_3)
	v_cndmask_b32_e32 v0, 0x7c00, v0, vcc_lo
	v_cmp_eq_u32_e32 vcc_lo, 0x40f, v5
	v_and_or_b32 v5, 0x8000, v14, v7
	v_cndmask_b32_e32 v0, v0, v6, vcc_lo
	s_waitcnt lgkmcnt(0)
	v_lshrrev_b32_e32 v24, 16, v18
	s_delay_alu instid0(VALU_DEP_2) | instskip(SKIP_3) | instid1(VALU_DEP_3)
	v_and_or_b32 v0, 0x8000, v1, v0
	v_and_b32_e32 v1, 0xffff, v5
	v_add_co_u32 v5, vcc_lo, v9, s12
	v_add_co_ci_u32_e32 v6, vcc_lo, s7, v10, vcc_lo
	v_lshl_or_b32 v0, v0, 16, v1
	s_waitcnt vmcnt(0)
	v_mul_f16_e32 v27, v25, v24
	global_store_b32 v[9:10], v0, off
	v_mul_f16_e32 v0, v25, v18
	scratch_load_b32 v25, off, off offset:164 ; 4-byte Folded Reload
	v_fmac_f16_e32 v27, v28, v18
	v_fma_f16 v0, v28, v24, -v0
	v_lshrrev_b32_e32 v24, 16, v19
	s_delay_alu instid0(VALU_DEP_2) | instskip(NEXT) | instid1(VALU_DEP_1)
	v_cvt_f32_f16_e32 v0, v0
	v_cvt_f64_f32_e32 v[0:1], v0
	s_delay_alu instid0(VALU_DEP_1) | instskip(NEXT) | instid1(VALU_DEP_1)
	v_mul_f64 v[0:1], v[0:1], s[10:11]
	v_and_or_b32 v0, 0x1ff, v1, v0
	v_lshrrev_b32_e32 v7, 8, v1
	v_bfe_u32 v9, v1, 20, 11
	v_lshrrev_b32_e32 v1, 16, v1
	s_delay_alu instid0(VALU_DEP_4) | instskip(SKIP_1) | instid1(VALU_DEP_1)
	v_cmp_ne_u32_e32 vcc_lo, 0, v0
	v_cndmask_b32_e64 v0, 0, 1, vcc_lo
	v_and_or_b32 v0, 0xffe, v7, v0
	v_sub_nc_u32_e32 v7, 0x3f1, v9
	s_delay_alu instid0(VALU_DEP_2) | instskip(NEXT) | instid1(VALU_DEP_2)
	v_or_b32_e32 v14, 0x1000, v0
	v_med3_i32 v7, v7, 0, 13
	s_delay_alu instid0(VALU_DEP_1) | instskip(NEXT) | instid1(VALU_DEP_1)
	v_lshrrev_b32_e32 v10, v7, v14
	v_lshlrev_b32_e32 v7, v7, v10
	s_delay_alu instid0(VALU_DEP_1) | instskip(SKIP_1) | instid1(VALU_DEP_1)
	v_cmp_ne_u32_e32 vcc_lo, v7, v14
	v_cvt_f64_f32_e32 v[14:15], v4
	v_mul_f64 v[14:15], v[14:15], s[10:11]
	s_delay_alu instid0(VALU_DEP_1) | instskip(SKIP_1) | instid1(VALU_DEP_2)
	v_and_or_b32 v4, 0x1ff, v15, v14
	v_lshrrev_b32_e32 v7, 8, v15
	v_cmp_ne_u32_e64 s2, 0, v4
	s_delay_alu instid0(VALU_DEP_1) | instskip(NEXT) | instid1(VALU_DEP_1)
	v_cndmask_b32_e64 v4, 0, 1, s2
	v_and_or_b32 v4, 0xffe, v7, v4
	v_bfe_u32 v7, v15, 20, 11
	s_delay_alu instid0(VALU_DEP_2) | instskip(NEXT) | instid1(VALU_DEP_2)
	v_or_b32_e32 v21, 0x1000, v4
	v_sub_nc_u32_e32 v14, 0x3f1, v7
	v_add_nc_u32_e32 v7, 0xfffffc10, v7
	s_delay_alu instid0(VALU_DEP_2) | instskip(NEXT) | instid1(VALU_DEP_1)
	v_med3_i32 v14, v14, 0, 13
	v_lshrrev_b32_e32 v22, v14, v21
	s_delay_alu instid0(VALU_DEP_1) | instskip(NEXT) | instid1(VALU_DEP_1)
	v_lshlrev_b32_e32 v14, v14, v22
	v_cmp_ne_u32_e64 s2, v14, v21
	v_lshl_or_b32 v21, v7, 12, v4
	s_delay_alu instid0(VALU_DEP_2) | instskip(SKIP_1) | instid1(VALU_DEP_2)
	v_cndmask_b32_e64 v14, 0, 1, s2
	v_cmp_gt_i32_e64 s2, 1, v7
	v_or_b32_e32 v14, v22, v14
	ds_load_2addr_b32 v[22:23], v138 offset0:16 offset1:124
	v_cndmask_b32_e64 v14, v21, v14, s2
	s_delay_alu instid0(VALU_DEP_1) | instskip(SKIP_1) | instid1(VALU_DEP_2)
	v_and_b32_e32 v21, 7, v14
	v_lshrrev_b32_e32 v14, 2, v14
	v_cmp_lt_i32_e64 s2, 5, v21
	v_cmp_eq_u32_e64 s3, 3, v21
	v_cndmask_b32_e64 v21, 0, 1, s1
	v_cmp_ne_u32_e64 s1, 0, v4
	v_add_nc_u32_e32 v4, 0xfffffc10, v17
	s_delay_alu instid0(VALU_DEP_4) | instskip(NEXT) | instid1(VALU_DEP_3)
	s_or_b32 s2, s3, s2
	v_or_b32_e32 v20, v20, v21
	v_add_co_ci_u32_e64 v14, s2, 0, v14, s2
	s_delay_alu instid0(VALU_DEP_3)
	v_lshl_or_b32 v17, v4, 12, v16
	v_cmp_gt_i32_e64 s4, 1, v4
	v_cmp_gt_i32_e64 s2, 31, v7
	v_cmp_ne_u32_e64 s3, 0, v16
	s_waitcnt lgkmcnt(0)
	v_lshrrev_b32_e32 v26, 16, v22
	v_cndmask_b32_e64 v17, v17, v20, s4
	v_cndmask_b32_e64 v20, 0, 1, s1
	;; [unrolled: 1-line block ×3, first 2 shown]
	v_cmp_eq_u32_e64 s1, 0x40f, v7
	v_cndmask_b32_e64 v16, 0, 1, s3
	s_delay_alu instid0(VALU_DEP_4) | instskip(NEXT) | instid1(VALU_DEP_2)
	v_lshl_or_b32 v20, v20, 9, 0x7c00
	v_lshl_or_b32 v16, v16, 9, 0x7c00
	s_delay_alu instid0(VALU_DEP_2) | instskip(SKIP_1) | instid1(VALU_DEP_1)
	v_cndmask_b32_e64 v7, v14, v20, s1
	v_and_b32_e32 v14, 7, v17
	v_cmp_lt_i32_e64 s1, 5, v14
	v_cmp_eq_u32_e64 s2, 3, v14
	v_lshrrev_b32_e32 v14, 16, v15
	v_lshrrev_b32_e32 v15, 2, v17
	s_delay_alu instid0(VALU_DEP_3) | instskip(NEXT) | instid1(VALU_DEP_2)
	s_or_b32 s1, s2, s1
	v_and_or_b32 v7, 0x8000, v14, v7
	s_delay_alu instid0(VALU_DEP_2)
	v_add_co_ci_u32_e64 v15, s1, 0, v15, s1
	v_cmp_gt_i32_e64 s1, 31, v4
	scratch_load_b32 v14, off, off offset:160 ; 4-byte Folded Reload
	v_and_b32_e32 v7, 0xffff, v7
	v_cndmask_b32_e64 v15, 0x7c00, v15, s1
	v_cmp_eq_u32_e64 s1, 0x40f, v4
	s_delay_alu instid0(VALU_DEP_1) | instskip(SKIP_1) | instid1(VALU_DEP_1)
	v_cndmask_b32_e64 v4, v15, v16, s1
	v_add_co_u32 v20, s1, v5, s12
	v_add_co_ci_u32_e64 v21, s1, s7, v6, s1
	s_delay_alu instid0(VALU_DEP_3) | instskip(NEXT) | instid1(VALU_DEP_1)
	v_and_or_b32 v4, 0x8000, v13, v4
	v_lshl_or_b32 v4, v4, 16, v7
	global_store_b32 v[5:6], v4, off
	v_mul_f16_e32 v4, v32, v22
	s_delay_alu instid0(VALU_DEP_1)
	v_fma_f16 v4, v33, v26, -v4
	v_mul_f16_e32 v26, v32, v26
	scratch_load_b32 v32, off, off offset:108 ; 4-byte Folded Reload
	v_cvt_f32_f16_e32 v4, v4
	v_fmac_f16_e32 v26, v33, v22
	v_lshrrev_b32_e32 v22, 16, v23
	s_delay_alu instid0(VALU_DEP_3) | instskip(NEXT) | instid1(VALU_DEP_1)
	v_cvt_f64_f32_e32 v[4:5], v4
	v_mul_f64 v[6:7], v[4:5], s[10:11]
	s_delay_alu instid0(VALU_DEP_1) | instskip(SKIP_3) | instid1(VALU_DEP_4)
	v_and_or_b32 v4, 0x1ff, v7, v6
	v_lshrrev_b32_e32 v5, 8, v7
	v_bfe_u32 v16, v7, 20, 11
	v_lshrrev_b32_e32 v7, 16, v7
	v_cmp_ne_u32_e64 s1, 0, v4
	s_delay_alu instid0(VALU_DEP_1) | instskip(NEXT) | instid1(VALU_DEP_1)
	v_cndmask_b32_e64 v4, 0, 1, s1
	v_and_or_b32 v15, 0xffe, v5, v4
	v_sub_nc_u32_e32 v4, 0x3f1, v16
	v_add_nc_u32_e32 v16, 0xfffffc10, v16
	s_delay_alu instid0(VALU_DEP_3) | instskip(NEXT) | instid1(VALU_DEP_3)
	v_or_b32_e32 v5, 0x1000, v15
	v_med3_i32 v4, v4, 0, 13
	s_delay_alu instid0(VALU_DEP_1) | instskip(NEXT) | instid1(VALU_DEP_1)
	v_lshrrev_b32_e32 v17, v4, v5
	v_lshlrev_b32_e32 v4, v4, v17
	s_delay_alu instid0(VALU_DEP_1)
	v_cmp_ne_u32_e64 s2, v4, v5
	scratch_load_b32 v4, off, off offset:172 ; 4-byte Folded Reload
	ds_load_2addr_b32 v[5:6], v150 offset0:72 offset1:180
	s_waitcnt vmcnt(2) lgkmcnt(0)
	v_mul_f16_e32 v13, v14, v5
	s_waitcnt vmcnt(0)
	v_mul_f16_e32 v18, v4, v24
	s_delay_alu instid0(VALU_DEP_1) | instskip(SKIP_2) | instid1(VALU_DEP_2)
	v_fmac_f16_e32 v18, v30, v19
	v_mul_f16_e32 v19, v4, v19
	v_lshrrev_b32_e32 v4, 16, v5
	v_fma_f16 v19, v30, v24, -v19
	s_delay_alu instid0(VALU_DEP_2) | instskip(SKIP_1) | instid1(VALU_DEP_2)
	v_mul_f16_e32 v14, v14, v4
	v_fma_f16 v28, v25, v4, -v13
	v_fmac_f16_e32 v14, v25, v5
	s_delay_alu instid0(VALU_DEP_1) | instskip(NEXT) | instid1(VALU_DEP_1)
	v_cvt_f32_f16_e32 v4, v14
	v_cvt_f64_f32_e32 v[4:5], v4
	s_delay_alu instid0(VALU_DEP_1) | instskip(NEXT) | instid1(VALU_DEP_1)
	v_mul_f64 v[4:5], v[4:5], s[10:11]
	v_and_or_b32 v4, 0x1ff, v5, v4
	v_lshrrev_b32_e32 v13, 8, v5
	s_delay_alu instid0(VALU_DEP_2) | instskip(NEXT) | instid1(VALU_DEP_1)
	v_cmp_ne_u32_e64 s1, 0, v4
	v_cndmask_b32_e64 v4, 0, 1, s1
	s_delay_alu instid0(VALU_DEP_1) | instskip(SKIP_2) | instid1(VALU_DEP_3)
	v_and_or_b32 v4, 0xffe, v13, v4
	v_bfe_u32 v13, v5, 20, 11
	v_lshrrev_b32_e32 v5, 16, v5
	v_or_b32_e32 v29, 0x1000, v4
	s_delay_alu instid0(VALU_DEP_3) | instskip(NEXT) | instid1(VALU_DEP_1)
	v_sub_nc_u32_e32 v14, 0x3f1, v13
	v_med3_i32 v25, v14, 0, 13
	s_delay_alu instid0(VALU_DEP_1) | instskip(NEXT) | instid1(VALU_DEP_1)
	v_lshrrev_b32_e32 v14, v25, v29
	v_lshlrev_b32_e32 v25, v25, v14
	s_delay_alu instid0(VALU_DEP_1) | instskip(SKIP_1) | instid1(VALU_DEP_1)
	v_cmp_ne_u32_e64 s1, v25, v29
	v_cvt_f64_f32_e32 v[24:25], v8
	v_mul_f64 v[24:25], v[24:25], s[10:11]
	s_delay_alu instid0(VALU_DEP_1) | instskip(SKIP_1) | instid1(VALU_DEP_2)
	v_and_or_b32 v8, 0x1ff, v25, v24
	v_lshrrev_b32_e32 v24, 8, v25
	v_cmp_ne_u32_e64 s3, 0, v8
	s_delay_alu instid0(VALU_DEP_1) | instskip(NEXT) | instid1(VALU_DEP_1)
	v_cndmask_b32_e64 v8, 0, 1, s3
	v_and_or_b32 v8, 0xffe, v24, v8
	v_bfe_u32 v24, v25, 20, 11
	s_delay_alu instid0(VALU_DEP_2) | instskip(NEXT) | instid1(VALU_DEP_2)
	v_or_b32_e32 v30, 0x1000, v8
	v_sub_nc_u32_e32 v29, 0x3f1, v24
	v_add_nc_u32_e32 v24, 0xfffffc10, v24
	v_cmp_ne_u32_e64 s4, 0, v8
	s_delay_alu instid0(VALU_DEP_3) | instskip(NEXT) | instid1(VALU_DEP_1)
	v_med3_i32 v29, v29, 0, 13
	v_lshrrev_b32_e32 v31, v29, v30
	s_delay_alu instid0(VALU_DEP_1) | instskip(NEXT) | instid1(VALU_DEP_1)
	v_lshlrev_b32_e32 v29, v29, v31
	v_cmp_ne_u32_e64 s3, v29, v30
	v_lshl_or_b32 v30, v24, 12, v8
	s_delay_alu instid0(VALU_DEP_2) | instskip(SKIP_1) | instid1(VALU_DEP_2)
	v_cndmask_b32_e64 v29, 0, 1, s3
	v_cmp_gt_i32_e64 s3, 1, v24
	v_or_b32_e32 v29, v31, v29
	scratch_load_b32 v31, off, off offset:152 ; 4-byte Folded Reload
	v_cndmask_b32_e64 v29, v30, v29, s3
	v_cndmask_b32_e64 v30, 0, 1, s0
	v_cmp_gt_i32_e64 s0, 1, v11
	s_delay_alu instid0(VALU_DEP_2) | instskip(SKIP_1) | instid1(VALU_DEP_1)
	v_or_b32_e32 v12, v12, v30
	v_lshl_or_b32 v30, v11, 12, v2
	v_cndmask_b32_e64 v12, v30, v12, s0
	v_and_b32_e32 v30, 7, v29
	s_delay_alu instid0(VALU_DEP_2) | instskip(NEXT) | instid1(VALU_DEP_2)
	v_and_b32_e32 v8, 7, v12
	v_cmp_lt_i32_e64 s0, 5, v30
	v_cmp_eq_u32_e64 s3, 3, v30
	v_lshrrev_b32_e32 v12, 2, v12
	s_delay_alu instid0(VALU_DEP_4) | instskip(SKIP_4) | instid1(VALU_DEP_3)
	v_cmp_lt_i32_e64 s5, 5, v8
	v_cmp_eq_u32_e64 s6, 3, v8
	v_lshrrev_b32_e32 v8, 2, v29
	s_or_b32 s0, s3, s0
	v_cndmask_b32_e64 v29, 0, 1, s4
	s_or_b32 s3, s6, s5
	s_delay_alu instid0(VALU_DEP_2) | instskip(SKIP_1) | instid1(VALU_DEP_3)
	v_add_co_ci_u32_e64 v8, s0, 0, v8, s0
	v_cmp_gt_i32_e64 s0, 31, v24
	v_lshl_or_b32 v29, v29, 9, 0x7c00
	v_add_co_ci_u32_e64 v12, s3, 0, v12, s3
	v_cmp_gt_i32_e64 s3, 31, v11
	s_delay_alu instid0(VALU_DEP_4) | instskip(SKIP_1) | instid1(VALU_DEP_3)
	v_cndmask_b32_e64 v8, 0x7c00, v8, s0
	v_cmp_eq_u32_e64 s0, 0x40f, v24
	v_cndmask_b32_e64 v12, 0x7c00, v12, s3
	s_delay_alu instid0(VALU_DEP_2) | instskip(SKIP_2) | instid1(VALU_DEP_2)
	v_cndmask_b32_e64 v8, v8, v29, s0
	v_cmp_ne_u32_e64 s0, 0, v2
	v_lshrrev_b32_e32 v2, 16, v25
	v_cndmask_b32_e64 v24, 0, 1, s0
	v_cmp_eq_u32_e64 s0, 0x40f, v11
	s_delay_alu instid0(VALU_DEP_3) | instskip(NEXT) | instid1(VALU_DEP_3)
	v_and_or_b32 v2, 0x8000, v2, v8
	v_lshl_or_b32 v24, v24, 9, 0x7c00
	s_delay_alu instid0(VALU_DEP_2) | instskip(NEXT) | instid1(VALU_DEP_2)
	v_and_b32_e32 v2, 0xffff, v2
	v_cndmask_b32_e64 v11, v12, v24, s0
	s_delay_alu instid0(VALU_DEP_1) | instskip(SKIP_1) | instid1(VALU_DEP_1)
	v_and_or_b32 v3, 0x8000, v3, v11
	v_add_co_u32 v11, s0, v20, s8
	v_add_co_ci_u32_e64 v12, s0, s9, v21, s0
	s_delay_alu instid0(VALU_DEP_3) | instskip(SKIP_2) | instid1(VALU_DEP_1)
	v_lshl_or_b32 v2, v3, 16, v2
	global_store_b32 v[20:21], v2, off
	v_cvt_f32_f16_e32 v2, v28
	v_cvt_f64_f32_e32 v[2:3], v2
	s_delay_alu instid0(VALU_DEP_1) | instskip(NEXT) | instid1(VALU_DEP_1)
	v_mul_f64 v[2:3], v[2:3], s[10:11]
	v_and_or_b32 v2, 0x1ff, v3, v2
	v_lshrrev_b32_e32 v8, 8, v3
	v_bfe_u32 v24, v3, 20, 11
	s_delay_alu instid0(VALU_DEP_3) | instskip(NEXT) | instid1(VALU_DEP_1)
	v_cmp_ne_u32_e64 s0, 0, v2
	v_cndmask_b32_e64 v2, 0, 1, s0
	s_delay_alu instid0(VALU_DEP_1) | instskip(NEXT) | instid1(VALU_DEP_4)
	v_and_or_b32 v2, 0xffe, v8, v2
	v_sub_nc_u32_e32 v8, 0x3f1, v24
	s_delay_alu instid0(VALU_DEP_2) | instskip(NEXT) | instid1(VALU_DEP_2)
	v_or_b32_e32 v20, 0x1000, v2
	v_med3_i32 v8, v8, 0, 13
	s_delay_alu instid0(VALU_DEP_1) | instskip(NEXT) | instid1(VALU_DEP_1)
	v_lshrrev_b32_e32 v25, v8, v20
	v_lshlrev_b32_e32 v8, v8, v25
	s_delay_alu instid0(VALU_DEP_1) | instskip(SKIP_3) | instid1(VALU_DEP_1)
	v_cmp_ne_u32_e64 s0, v8, v20
	scratch_load_b32 v8, off, off offset:156 ; 4-byte Folded Reload
	s_waitcnt vmcnt(0)
	v_mul_f16_e32 v28, v8, v22
	v_fmac_f16_e32 v28, v31, v23
	v_mul_f16_e32 v23, v8, v23
	v_cvt_f32_f16_e32 v8, v27
	s_delay_alu instid0(VALU_DEP_1) | instskip(NEXT) | instid1(VALU_DEP_1)
	v_cvt_f64_f32_e32 v[20:21], v8
	v_mul_f64 v[20:21], v[20:21], s[10:11]
	s_delay_alu instid0(VALU_DEP_1) | instskip(SKIP_1) | instid1(VALU_DEP_2)
	v_and_or_b32 v8, 0x1ff, v21, v20
	v_lshrrev_b32_e32 v20, 8, v21
	v_cmp_ne_u32_e64 s3, 0, v8
	s_delay_alu instid0(VALU_DEP_1) | instskip(NEXT) | instid1(VALU_DEP_1)
	v_cndmask_b32_e64 v8, 0, 1, s3
	v_and_or_b32 v8, 0xffe, v20, v8
	v_bfe_u32 v20, v21, 20, 11
	s_delay_alu instid0(VALU_DEP_2) | instskip(NEXT) | instid1(VALU_DEP_2)
	v_or_b32_e32 v29, 0x1000, v8
	v_sub_nc_u32_e32 v27, 0x3f1, v20
	v_add_nc_u32_e32 v20, 0xfffffc10, v20
	s_delay_alu instid0(VALU_DEP_2) | instskip(NEXT) | instid1(VALU_DEP_1)
	v_med3_i32 v27, v27, 0, 13
	v_lshrrev_b32_e32 v30, v27, v29
	s_delay_alu instid0(VALU_DEP_1) | instskip(NEXT) | instid1(VALU_DEP_1)
	v_lshlrev_b32_e32 v27, v27, v30
	v_cmp_ne_u32_e64 s3, v27, v29
	v_lshl_or_b32 v29, v20, 12, v8
	s_delay_alu instid0(VALU_DEP_2) | instskip(SKIP_1) | instid1(VALU_DEP_2)
	v_cndmask_b32_e64 v27, 0, 1, s3
	v_cmp_gt_i32_e64 s3, 1, v20
	v_or_b32_e32 v27, v30, v27
	s_delay_alu instid0(VALU_DEP_1) | instskip(NEXT) | instid1(VALU_DEP_1)
	v_cndmask_b32_e64 v27, v29, v27, s3
	v_and_b32_e32 v29, 7, v27
	s_delay_alu instid0(VALU_DEP_1) | instskip(SKIP_4) | instid1(VALU_DEP_4)
	v_cmp_lt_i32_e64 s3, 5, v29
	v_cmp_eq_u32_e64 s4, 3, v29
	v_cndmask_b32_e64 v29, 0, 1, vcc_lo
	v_cmp_ne_u32_e32 vcc_lo, 0, v8
	v_add_nc_u32_e32 v8, 0xfffffc10, v9
	s_or_b32 s3, s4, s3
	s_delay_alu instid0(VALU_DEP_3) | instskip(SKIP_1) | instid1(VALU_DEP_3)
	v_or_b32_e32 v10, v10, v29
	v_cmp_ne_u32_e64 s4, 0, v0
	v_lshl_or_b32 v9, v8, 12, v0
	v_cmp_gt_i32_e64 s5, 1, v8
	scratch_load_b32 v29, off, off offset:112 ; 4-byte Folded Reload
	v_cndmask_b32_e64 v9, v9, v10, s5
	v_lshrrev_b32_e32 v10, 2, v27
	v_cndmask_b32_e64 v27, 0, 1, vcc_lo
	v_cmp_eq_u32_e32 vcc_lo, 0x40f, v20
	s_delay_alu instid0(VALU_DEP_4) | instskip(NEXT) | instid1(VALU_DEP_4)
	v_lshrrev_b32_e32 v0, 2, v9
	v_add_co_ci_u32_e64 v10, s3, 0, v10, s3
	v_cmp_gt_i32_e64 s3, 31, v20
	v_lshl_or_b32 v27, v27, 9, 0x7c00
	v_and_b32_e32 v20, 7, v9
	v_cndmask_b32_e64 v9, 0, 1, s4
	s_delay_alu instid0(VALU_DEP_4) | instskip(NEXT) | instid1(VALU_DEP_3)
	v_cndmask_b32_e64 v10, 0x7c00, v10, s3
	v_cmp_eq_u32_e64 s3, 3, v20
	s_delay_alu instid0(VALU_DEP_3) | instskip(NEXT) | instid1(VALU_DEP_3)
	v_lshl_or_b32 v9, v9, 9, 0x7c00
	v_cndmask_b32_e32 v10, v10, v27, vcc_lo
	v_cmp_lt_i32_e32 vcc_lo, 5, v20
	v_lshrrev_b32_e32 v20, 16, v21
	scratch_load_b32 v27, off, off offset:128 ; 4-byte Folded Reload
	s_or_b32 vcc_lo, s3, vcc_lo
	v_add_co_ci_u32_e32 v0, vcc_lo, 0, v0, vcc_lo
	v_cmp_gt_i32_e32 vcc_lo, 31, v8
	s_delay_alu instid0(VALU_DEP_2) | instskip(SKIP_2) | instid1(VALU_DEP_3)
	v_cndmask_b32_e32 v0, 0x7c00, v0, vcc_lo
	v_cmp_eq_u32_e32 vcc_lo, 0x40f, v8
	v_and_or_b32 v8, 0x8000, v20, v10
	v_cndmask_b32_e32 v0, v0, v9, vcc_lo
	s_delay_alu instid0(VALU_DEP_1) | instskip(NEXT) | instid1(VALU_DEP_3)
	v_and_or_b32 v0, 0x8000, v1, v0
	v_and_b32_e32 v1, 0xffff, v8
	v_add_co_u32 v8, vcc_lo, v11, s12
	v_add_co_ci_u32_e32 v9, vcc_lo, s7, v12, vcc_lo
	s_delay_alu instid0(VALU_DEP_3) | instskip(SKIP_4) | instid1(VALU_DEP_1)
	v_lshl_or_b32 v0, v0, 16, v1
	global_store_b32 v[11:12], v0, off
	v_cvt_f32_f16_e32 v0, v26
	scratch_load_b32 v26, off, off offset:132 ; 4-byte Folded Reload
	v_cvt_f64_f32_e32 v[0:1], v0
	v_mul_f64 v[0:1], v[0:1], s[10:11]
	s_delay_alu instid0(VALU_DEP_1) | instskip(SKIP_1) | instid1(VALU_DEP_2)
	v_and_or_b32 v0, 0x1ff, v1, v0
	v_lshrrev_b32_e32 v10, 8, v1
	v_cmp_ne_u32_e32 vcc_lo, 0, v0
	v_cndmask_b32_e64 v0, 0, 1, vcc_lo
	s_delay_alu instid0(VALU_DEP_1) | instskip(SKIP_2) | instid1(VALU_DEP_3)
	v_and_or_b32 v0, 0xffe, v10, v0
	v_bfe_u32 v10, v1, 20, 11
	v_lshrrev_b32_e32 v1, 16, v1
	v_or_b32_e32 v12, 0x1000, v0
	s_delay_alu instid0(VALU_DEP_3) | instskip(SKIP_2) | instid1(VALU_DEP_3)
	v_sub_nc_u32_e32 v11, 0x3f1, v10
	v_add_nc_u32_e32 v10, 0xfffffc10, v10
	v_cmp_ne_u32_e64 s3, 0, v0
	v_med3_i32 v11, v11, 0, 13
	s_delay_alu instid0(VALU_DEP_1) | instskip(NEXT) | instid1(VALU_DEP_1)
	v_lshrrev_b32_e32 v20, v11, v12
	v_lshlrev_b32_e32 v11, v11, v20
	s_delay_alu instid0(VALU_DEP_1) | instskip(SKIP_3) | instid1(VALU_DEP_2)
	v_cmp_ne_u32_e32 vcc_lo, v11, v12
	v_lshl_or_b32 v12, v10, 12, v0
	v_cndmask_b32_e64 v11, 0, 1, vcc_lo
	v_cmp_gt_i32_e32 vcc_lo, 1, v10
	v_or_b32_e32 v11, v20, v11
	s_delay_alu instid0(VALU_DEP_1) | instskip(SKIP_2) | instid1(VALU_DEP_2)
	v_cndmask_b32_e32 v11, v12, v11, vcc_lo
	v_cndmask_b32_e64 v12, 0, 1, s2
	v_cmp_gt_i32_e32 vcc_lo, 1, v16
	v_or_b32_e32 v12, v17, v12
	v_lshl_or_b32 v17, v16, 12, v15
	s_delay_alu instid0(VALU_DEP_1) | instskip(NEXT) | instid1(VALU_DEP_1)
	v_dual_cndmask_b32 v12, v17, v12 :: v_dual_and_b32 v17, 7, v11
	v_and_b32_e32 v0, 7, v12
	s_delay_alu instid0(VALU_DEP_2)
	v_cmp_lt_i32_e32 vcc_lo, 5, v17
	v_cmp_eq_u32_e64 s2, 3, v17
	scratch_load_b32 v17, off, off offset:148 ; 4-byte Folded Reload
	v_cmp_lt_i32_e64 s4, 5, v0
	v_cmp_eq_u32_e64 s5, 3, v0
	v_lshrrev_b32_e32 v0, 2, v11
	s_or_b32 vcc_lo, s2, vcc_lo
	v_cndmask_b32_e64 v11, 0, 1, s3
	s_delay_alu instid0(VALU_DEP_3) | instskip(NEXT) | instid1(VALU_DEP_2)
	s_or_b32 s2, s5, s4
	v_add_co_ci_u32_e32 v0, vcc_lo, 0, v0, vcc_lo
	v_cmp_gt_i32_e32 vcc_lo, 31, v10
	s_delay_alu instid0(VALU_DEP_3) | instskip(NEXT) | instid1(VALU_DEP_3)
	v_lshl_or_b32 v11, v11, 9, 0x7c00
	v_cndmask_b32_e32 v0, 0x7c00, v0, vcc_lo
	v_cmp_eq_u32_e32 vcc_lo, 0x40f, v10
	v_lshrrev_b32_e32 v10, 2, v12
	v_cvt_f32_f16_e32 v12, v19
	s_delay_alu instid0(VALU_DEP_4)
	v_cndmask_b32_e32 v0, v0, v11, vcc_lo
	v_cmp_ne_u32_e32 vcc_lo, 0, v15
	scratch_load_b32 v15, off, off offset:144 ; 4-byte Folded Reload
	v_add_co_ci_u32_e64 v10, s2, 0, v10, s2
	v_cmp_gt_i32_e64 s2, 31, v16
	v_cndmask_b32_e64 v11, 0, 1, vcc_lo
	v_cmp_eq_u32_e32 vcc_lo, 0x40f, v16
	v_and_or_b32 v0, 0x8000, v1, v0
	s_delay_alu instid0(VALU_DEP_4) | instskip(NEXT) | instid1(VALU_DEP_4)
	v_cndmask_b32_e64 v10, 0x7c00, v10, s2
	v_lshl_or_b32 v11, v11, 9, 0x7c00
	s_delay_alu instid0(VALU_DEP_3) | instskip(NEXT) | instid1(VALU_DEP_2)
	v_and_b32_e32 v0, 0xffff, v0
	v_cndmask_b32_e32 v10, v10, v11, vcc_lo
	s_delay_alu instid0(VALU_DEP_1) | instskip(SKIP_3) | instid1(VALU_DEP_4)
	v_and_or_b32 v1, 0x8000, v7, v10
	v_cvt_f32_f16_e32 v10, v18
	v_add_co_u32 v7, vcc_lo, v8, s12
	v_cvt_f32_f16_e32 v18, v28
	v_lshl_or_b32 v1, v1, 16, v0
	s_delay_alu instid0(VALU_DEP_4)
	v_cvt_f64_f32_e32 v[10:11], v10
	v_fma_f16 v0, v31, v22, -v23
	scratch_load_b32 v31, off, off offset:120 ; 4-byte Folded Reload
	global_store_b32 v[8:9], v1, off
	v_lshrrev_b32_e32 v1, 16, v6
	v_add_co_ci_u32_e32 v8, vcc_lo, s7, v9, vcc_lo
	v_cvt_f32_f16_e32 v0, v0
	v_mul_f64 v[10:11], v[10:11], s[10:11]
	s_delay_alu instid0(VALU_DEP_1) | instskip(NEXT) | instid1(VALU_DEP_1)
	v_and_or_b32 v10, 0x1ff, v11, v10
	v_cmp_ne_u32_e32 vcc_lo, 0, v10
	v_cndmask_b32_e64 v10, 0, 1, vcc_lo
	s_waitcnt vmcnt(1)
	v_mul_f16_e32 v9, v15, v1
	s_delay_alu instid0(VALU_DEP_1) | instskip(SKIP_2) | instid1(VALU_DEP_3)
	v_fmac_f16_e32 v9, v17, v6
	v_mul_f16_e32 v6, v15, v6
	v_cvt_f64_f32_e32 v[15:16], v12
	v_cvt_f32_f16_e32 v9, v9
	s_delay_alu instid0(VALU_DEP_3) | instskip(SKIP_1) | instid1(VALU_DEP_2)
	v_fma_f16 v1, v17, v1, -v6
	v_lshrrev_b32_e32 v6, 8, v11
	v_cvt_f32_f16_e32 v1, v1
	s_delay_alu instid0(VALU_DEP_2) | instskip(SKIP_1) | instid1(VALU_DEP_1)
	v_and_or_b32 v10, 0xffe, v6, v10
	v_mul_f64 v[15:16], v[15:16], s[10:11]
	v_and_or_b32 v12, 0x1ff, v16, v15
	v_bfe_u32 v21, v16, 20, 11
	s_delay_alu instid0(VALU_DEP_2) | instskip(SKIP_2) | instid1(VALU_DEP_1)
	v_cmp_ne_u32_e32 vcc_lo, 0, v12
	v_lshrrev_b32_e32 v12, 8, v16
	v_cndmask_b32_e64 v6, 0, 1, vcc_lo
	v_and_or_b32 v17, 0xffe, v12, v6
	v_cndmask_b32_e64 v6, 0, 1, s1
	v_add_nc_u32_e32 v12, 0xfffffc10, v13
	s_delay_alu instid0(VALU_DEP_2) | instskip(NEXT) | instid1(VALU_DEP_2)
	v_or_b32_e32 v6, v14, v6
	v_lshl_or_b32 v13, v12, 12, v4
	v_cmp_gt_i32_e32 vcc_lo, 1, v12
	v_add_nc_u32_e32 v14, 0xfffffc10, v24
	scratch_load_b32 v24, off, off offset:136 ; 4-byte Folded Reload
	v_cndmask_b32_e32 v6, v13, v6, vcc_lo
	v_cndmask_b32_e64 v13, 0, 1, s0
	v_lshl_or_b32 v15, v14, 12, v2
	v_cmp_gt_i32_e32 vcc_lo, 1, v14
	s_delay_alu instid0(VALU_DEP_3) | instskip(SKIP_4) | instid1(VALU_DEP_3)
	v_or_b32_e32 v13, v25, v13
	scratch_load_b32 v25, off, off offset:140 ; 4-byte Folded Reload
	v_cndmask_b32_e32 v13, v15, v13, vcc_lo
	v_and_b32_e32 v15, 7, v6
	v_lshrrev_b32_e32 v6, 2, v6
	v_lshrrev_b32_e32 v20, 2, v13
	s_delay_alu instid0(VALU_DEP_3) | instskip(SKIP_2) | instid1(VALU_DEP_2)
	v_cmp_lt_i32_e32 vcc_lo, 5, v15
	v_cmp_eq_u32_e64 s0, 3, v15
	v_and_b32_e32 v15, 7, v13
	s_or_b32 vcc_lo, s0, vcc_lo
	v_cmp_gt_i32_e64 s0, 31, v12
	v_add_co_ci_u32_e32 v6, vcc_lo, 0, v6, vcc_lo
	v_cmp_ne_u32_e32 vcc_lo, 0, v4
	v_cmp_lt_i32_e64 s1, 5, v15
	s_delay_alu instid0(VALU_DEP_3) | instskip(SKIP_4) | instid1(VALU_DEP_3)
	v_cndmask_b32_e64 v6, 0x7c00, v6, s0
	v_cmp_eq_u32_e64 s0, 0x40f, v12
	v_cndmask_b32_e64 v4, 0, 1, vcc_lo
	v_cmp_eq_u32_e32 vcc_lo, 3, v15
	v_bfe_u32 v15, v11, 20, 11
	v_lshl_or_b32 v4, v4, 9, 0x7c00
	s_or_b32 vcc_lo, vcc_lo, s1
	s_delay_alu instid0(VALU_DEP_2)
	v_sub_nc_u32_e32 v12, 0x3f1, v15
	v_add_nc_u32_e32 v15, 0xfffffc10, v15
	v_cmp_ne_u32_e64 s1, 0, v10
	v_cndmask_b32_e64 v4, v6, v4, s0
	v_add_co_ci_u32_e32 v6, vcc_lo, 0, v20, vcc_lo
	v_cmp_ne_u32_e32 vcc_lo, 0, v2
	v_med3_i32 v19, v12, 0, 13
	v_cvt_f64_f32_e32 v[12:13], v18
	v_or_b32_e32 v18, 0x1000, v10
	v_cndmask_b32_e64 v2, 0, 1, vcc_lo
	v_cmp_gt_i32_e32 vcc_lo, 31, v14
	s_delay_alu instid0(VALU_DEP_2) | instskip(SKIP_3) | instid1(VALU_DEP_3)
	v_lshl_or_b32 v2, v2, 9, 0x7c00
	v_cndmask_b32_e32 v6, 0x7c00, v6, vcc_lo
	v_cmp_eq_u32_e32 vcc_lo, 0x40f, v14
	v_lshrrev_b32_e32 v14, v19, v18
	v_cndmask_b32_e32 v20, v6, v2, vcc_lo
	s_delay_alu instid0(VALU_DEP_2) | instskip(SKIP_3) | instid1(VALU_DEP_4)
	v_lshlrev_b32_e32 v2, v19, v14
	v_lshrrev_b32_e32 v19, 16, v3
	v_sub_nc_u32_e32 v3, 0x3f1, v21
	v_add_nc_u32_e32 v21, 0xfffffc10, v21
	v_cmp_ne_u32_e32 vcc_lo, v2, v18
	v_cvt_f64_f32_e32 v[1:2], v1
	s_delay_alu instid0(VALU_DEP_4)
	v_med3_i32 v3, v3, 0, 13
	v_and_or_b32 v18, 0x8000, v5, v4
	v_lshl_or_b32 v5, v15, 12, v10
	v_cndmask_b32_e64 v6, 0, 1, vcc_lo
	v_cmp_gt_i32_e32 vcc_lo, 1, v15
	v_cndmask_b32_e64 v10, 0, 1, s1
	v_and_b32_e32 v18, 0xffff, v18
	v_cmp_gt_i32_e64 s1, 31, v15
	v_or_b32_e32 v4, v14, v6
	v_or_b32_e32 v14, 0x1000, v17
	v_lshl_or_b32 v10, v10, 9, 0x7c00
	s_delay_alu instid0(VALU_DEP_3) | instskip(NEXT) | instid1(VALU_DEP_3)
	v_cndmask_b32_e32 v22, v5, v4, vcc_lo
	v_lshrrev_b32_e32 v23, v3, v14
	v_mul_f64 v[5:6], v[12:13], s[10:11]
	v_lshl_or_b32 v13, v21, 12, v17
	s_delay_alu instid0(VALU_DEP_3) | instskip(NEXT) | instid1(VALU_DEP_1)
	v_lshlrev_b32_e32 v3, v3, v23
	v_cmp_ne_u32_e32 vcc_lo, v3, v14
	ds_load_2addr_b32 v[3:4], v241 offset0:48 offset1:156
	v_and_or_b32 v14, 0x8000, v19, v20
	v_and_b32_e32 v19, 7, v22
	v_cndmask_b32_e64 v12, 0, 1, vcc_lo
	v_cmp_gt_i32_e32 vcc_lo, 1, v21
	s_delay_alu instid0(VALU_DEP_3) | instskip(NEXT) | instid1(VALU_DEP_3)
	v_cmp_eq_u32_e64 s0, 3, v19
	v_or_b32_e32 v12, v23, v12
	v_mul_f64 v[1:2], v[1:2], s[10:11]
	s_delay_alu instid0(VALU_DEP_2)
	v_cndmask_b32_e32 v20, v13, v12, vcc_lo
	v_cvt_f64_f32_e32 v[12:13], v0
	v_cmp_lt_i32_e32 vcc_lo, 5, v19
	v_lshl_or_b32 v0, v14, 16, v18
	v_lshrrev_b32_e32 v14, 2, v22
	v_and_b32_e32 v18, 7, v20
	s_waitcnt lgkmcnt(0)
	v_lshrrev_b32_e32 v19, 16, v3
	s_or_b32 vcc_lo, s0, vcc_lo
	global_store_b32 v[7:8], v0, off
	v_add_co_ci_u32_e32 v14, vcc_lo, 0, v14, vcc_lo
	v_cmp_lt_i32_e32 vcc_lo, 5, v18
	v_cmp_eq_u32_e64 s0, 3, v18
	s_delay_alu instid0(VALU_DEP_3) | instskip(SKIP_2) | instid1(VALU_DEP_4)
	v_cndmask_b32_e64 v14, 0x7c00, v14, s1
	v_cmp_eq_u32_e64 s1, 0x40f, v15
	v_lshrrev_b32_e32 v15, 2, v20
	s_or_b32 vcc_lo, s0, vcc_lo
	v_and_or_b32 v5, 0x1ff, v6, v5
	v_lshrrev_b32_e32 v23, 8, v6
	v_cndmask_b32_e64 v20, v14, v10, s1
	v_add_co_ci_u32_e32 v10, vcc_lo, 0, v15, vcc_lo
	v_cmp_ne_u32_e32 vcc_lo, 0, v17
	v_cndmask_b32_e64 v17, 0, 1, vcc_lo
	v_cmp_ne_u32_e32 vcc_lo, 0, v5
	v_lshrrev_b32_e32 v5, 16, v11
	s_delay_alu instid0(VALU_DEP_3) | instskip(NEXT) | instid1(VALU_DEP_2)
	v_lshl_or_b32 v17, v17, 9, 0x7c00
	v_and_or_b32 v5, 0x8000, v5, v20
	v_and_or_b32 v1, 0x1ff, v2, v1
	v_bfe_u32 v20, v2, 20, 11
	s_waitcnt vmcnt(0)
	v_mul_f16_e32 v18, v25, v19
	s_delay_alu instid0(VALU_DEP_1) | instskip(SKIP_1) | instid1(VALU_DEP_2)
	v_fmac_f16_e32 v18, v24, v3
	v_mul_f16_e32 v3, v25, v3
	v_cvt_f32_f16_e32 v18, v18
	s_delay_alu instid0(VALU_DEP_2) | instskip(NEXT) | instid1(VALU_DEP_2)
	v_fma_f16 v3, v24, v19, -v3
	v_cvt_f64_f32_e32 v[14:15], v18
	v_cndmask_b32_e64 v18, 0, 1, vcc_lo
	v_cmp_gt_i32_e32 vcc_lo, 31, v21
	s_delay_alu instid0(VALU_DEP_4) | instskip(NEXT) | instid1(VALU_DEP_3)
	v_cvt_f32_f16_e32 v3, v3
	v_and_or_b32 v18, 0xffe, v23, v18
	v_cndmask_b32_e32 v22, 0x7c00, v10, vcc_lo
	v_mul_f64 v[10:11], v[12:13], s[10:11]
	v_cmp_eq_u32_e32 vcc_lo, 0x40f, v21
	v_lshrrev_b32_e32 v13, 16, v16
	v_lshrrev_b32_e32 v16, 8, v2
	;; [unrolled: 1-line block ×3, first 2 shown]
	v_cndmask_b32_e32 v12, v22, v17, vcc_lo
	v_cmp_ne_u32_e32 vcc_lo, 0, v1
	v_bfe_u32 v17, v6, 20, 11
	v_lshrrev_b32_e32 v6, 16, v6
	s_delay_alu instid0(VALU_DEP_4) | instskip(SKIP_4) | instid1(VALU_DEP_4)
	v_and_or_b32 v0, 0x8000, v13, v12
	v_cndmask_b32_e64 v1, 0, 1, vcc_lo
	v_and_b32_e32 v12, 0xffff, v5
	v_add_co_u32 v7, vcc_lo, v7, s8
	v_add_co_ci_u32_e32 v8, vcc_lo, s9, v8, vcc_lo
	v_and_or_b32 v5, 0xffe, v16, v1
	v_sub_nc_u32_e32 v1, 0x3f1, v20
	v_lshl_or_b32 v0, v0, 16, v12
	v_sub_nc_u32_e32 v13, 0x3f1, v17
	v_add_co_u32 v12, vcc_lo, v7, s12
	s_delay_alu instid0(VALU_DEP_4)
	v_med3_i32 v16, v1, 0, 13
	v_or_b32_e32 v21, 0x1000, v5
	global_store_b32 v[7:8], v0, off
	v_med3_i32 v22, v13, 0, 13
	v_add_co_ci_u32_e32 v13, vcc_lo, s7, v8, vcc_lo
	v_mul_f64 v[0:1], v[14:15], s[10:11]
	v_lshrrev_b32_e32 v23, v16, v21
	v_or_b32_e32 v7, 0x1000, v18
	v_add_nc_u32_e32 v17, 0xfffffc10, v17
	s_delay_alu instid0(VALU_DEP_3) | instskip(NEXT) | instid1(VALU_DEP_3)
	v_lshlrev_b32_e32 v8, v16, v23
	v_lshrrev_b32_e32 v14, v22, v7
	v_bfe_u32 v15, v11, 20, 11
	s_delay_alu instid0(VALU_DEP_3) | instskip(SKIP_1) | instid1(VALU_DEP_4)
	v_cmp_ne_u32_e32 vcc_lo, v8, v21
	v_and_or_b32 v8, 0x1ff, v11, v10
	v_lshlrev_b32_e32 v10, v22, v14
	s_delay_alu instid0(VALU_DEP_4) | instskip(NEXT) | instid1(VALU_DEP_3)
	v_add_nc_u32_e32 v21, 0xfffffc10, v15
	v_cmp_ne_u32_e64 s0, 0, v8
	s_delay_alu instid0(VALU_DEP_2) | instskip(NEXT) | instid1(VALU_DEP_2)
	v_cmp_gt_i32_e64 s2, 1, v21
	v_cndmask_b32_e64 v8, 0, 1, s0
	v_cmp_ne_u32_e64 s0, v10, v7
	v_lshrrev_b32_e32 v7, 8, v11
	v_sub_nc_u32_e32 v10, 0x3f1, v15
	v_lshrrev_b32_e32 v11, 16, v11
	s_delay_alu instid0(VALU_DEP_3) | instskip(SKIP_1) | instid1(VALU_DEP_4)
	v_and_or_b32 v16, 0xffe, v7, v8
	v_cndmask_b32_e64 v7, 0, 1, s0
	v_med3_i32 v8, v10, 0, 13
	v_cmp_gt_i32_e64 s0, 1, v17
	s_delay_alu instid0(VALU_DEP_4) | instskip(NEXT) | instid1(VALU_DEP_4)
	v_or_b32_e32 v10, 0x1000, v16
	v_or_b32_e32 v7, v14, v7
	v_lshl_or_b32 v14, v17, 12, v18
	v_and_or_b32 v0, 0x1ff, v1, v0
	s_delay_alu instid0(VALU_DEP_4) | instskip(NEXT) | instid1(VALU_DEP_3)
	v_lshrrev_b32_e32 v19, v8, v10
	v_cndmask_b32_e64 v14, v14, v7, s0
	s_delay_alu instid0(VALU_DEP_3) | instskip(NEXT) | instid1(VALU_DEP_3)
	v_cmp_ne_u32_e64 s0, 0, v0
	v_lshlrev_b32_e32 v7, v8, v19
	s_delay_alu instid0(VALU_DEP_3) | instskip(SKIP_1) | instid1(VALU_DEP_4)
	v_and_b32_e32 v8, 7, v14
	v_lshrrev_b32_e32 v14, 2, v14
	v_cndmask_b32_e64 v0, 0, 1, s0
	s_delay_alu instid0(VALU_DEP_4) | instskip(SKIP_2) | instid1(VALU_DEP_3)
	v_cmp_ne_u32_e64 s0, v7, v10
	v_lshrrev_b32_e32 v7, 8, v1
	v_cmp_lt_i32_e64 s1, 5, v8
	v_cndmask_b32_e64 v10, 0, 1, s0
	s_delay_alu instid0(VALU_DEP_3) | instskip(SKIP_2) | instid1(VALU_DEP_4)
	v_and_or_b32 v0, 0xffe, v7, v0
	v_cmp_eq_u32_e64 s0, 3, v8
	v_cvt_f64_f32_e32 v[7:8], v9
	v_or_b32_e32 v9, v19, v10
	v_lshl_or_b32 v10, v21, 12, v16
	s_delay_alu instid0(VALU_DEP_4) | instskip(NEXT) | instid1(SALU_CYCLE_1)
	s_or_b32 s0, s0, s1
	v_add_co_ci_u32_e64 v14, s0, 0, v14, s0
	s_delay_alu instid0(VALU_DEP_2) | instskip(SKIP_2) | instid1(VALU_DEP_1)
	v_cndmask_b32_e64 v19, v10, v9, s2
	ds_load_2addr_b32 v[9:10], v147 offset0:104 offset1:212
	v_cmp_ne_u32_e64 s0, 0, v18
	v_cndmask_b32_e64 v15, 0, 1, s0
	v_cmp_gt_i32_e64 s0, 31, v17
	s_delay_alu instid0(VALU_DEP_2) | instskip(NEXT) | instid1(VALU_DEP_2)
	v_lshl_or_b32 v15, v15, 9, 0x7c00
	v_cndmask_b32_e64 v14, 0x7c00, v14, s0
	v_cmp_eq_u32_e64 s0, 0x40f, v17
	s_delay_alu instid0(VALU_DEP_1) | instskip(SKIP_3) | instid1(VALU_DEP_3)
	v_cndmask_b32_e64 v22, v14, v15, s0
	v_and_b32_e32 v14, 7, v19
	s_waitcnt lgkmcnt(0)
	v_lshrrev_b32_e32 v24, 16, v9
	v_and_or_b32 v6, 0x8000, v6, v22
	s_delay_alu instid0(VALU_DEP_3) | instskip(NEXT) | instid1(VALU_DEP_3)
	v_cmp_lt_i32_e64 s0, 5, v14
	v_mul_f16_e32 v17, v26, v24
	v_cmp_eq_u32_e64 s1, 3, v14
	v_cvt_f64_f32_e32 v[14:15], v3
	v_lshrrev_b32_e32 v3, 2, v19
	v_mul_f64 v[7:8], v[7:8], s[10:11]
	v_fmac_f16_e32 v17, v27, v9
	s_or_b32 s0, s1, s0
	v_or_b32_e32 v22, 0x1000, v0
	v_add_co_ci_u32_e64 v3, s0, 0, v3, s0
	s_delay_alu instid0(VALU_DEP_3) | instskip(SKIP_3) | instid1(VALU_DEP_4)
	v_cvt_f32_f16_e32 v17, v17
	v_cmp_ne_u32_e64 s0, 0, v16
	v_and_b32_e32 v6, 0xffff, v6
	v_mul_f16_e32 v9, v26, v9
	v_cvt_f64_f32_e32 v[17:18], v17
	s_delay_alu instid0(VALU_DEP_4) | instskip(SKIP_1) | instid1(VALU_DEP_4)
	v_cndmask_b32_e64 v16, 0, 1, s0
	v_cmp_gt_i32_e64 s0, 31, v21
	v_fma_f16 v9, v27, v24, -v9
	s_delay_alu instid0(VALU_DEP_3) | instskip(NEXT) | instid1(VALU_DEP_3)
	v_lshl_or_b32 v16, v16, 9, 0x7c00
	v_cndmask_b32_e64 v3, 0x7c00, v3, s0
	v_cmp_eq_u32_e64 s0, 0x40f, v21
	v_bfe_u32 v21, v1, 20, 11
	v_cvt_f32_f16_e32 v9, v9
	v_lshrrev_b32_e32 v1, 16, v1
	s_delay_alu instid0(VALU_DEP_4) | instskip(NEXT) | instid1(VALU_DEP_4)
	v_cndmask_b32_e64 v3, v3, v16, s0
	v_sub_nc_u32_e32 v16, 0x3f1, v21
	s_delay_alu instid0(VALU_DEP_2) | instskip(NEXT) | instid1(VALU_DEP_2)
	v_and_or_b32 v3, 0x8000, v11, v3
	v_med3_i32 v19, v16, 0, 13
	s_delay_alu instid0(VALU_DEP_2) | instskip(NEXT) | instid1(VALU_DEP_2)
	v_lshl_or_b32 v3, v3, 16, v6
	v_lshrrev_b32_e32 v25, v19, v22
	v_mul_f64 v[15:16], v[14:15], s[10:11]
	v_and_or_b32 v6, 0x1ff, v8, v7
	v_bfe_u32 v14, v8, 20, 11
	s_delay_alu instid0(VALU_DEP_4) | instskip(SKIP_4) | instid1(VALU_DEP_2)
	v_lshlrev_b32_e32 v7, v19, v25
	global_store_b32 v[12:13], v3, off
	v_lshrrev_b32_e32 v3, 8, v8
	v_cmp_ne_u32_e64 s0, 0, v6
	v_lshrrev_b32_e32 v8, 16, v8
	v_cndmask_b32_e64 v11, 0, 1, s0
	v_cmp_ne_u32_e64 s0, v7, v22
	v_mul_f64 v[6:7], v[17:18], s[10:11]
	v_add_co_u32 v17, s1, v12, s12
	v_sub_nc_u32_e32 v12, 0x3f1, v14
	v_and_or_b32 v3, 0xffe, v3, v11
	v_add_co_ci_u32_e64 v18, s1, s7, v13, s1
	v_add_nc_u32_e32 v14, 0xfffffc10, v14
	s_delay_alu instid0(VALU_DEP_4) | instskip(NEXT) | instid1(VALU_DEP_4)
	v_med3_i32 v11, v12, 0, 13
	v_or_b32_e32 v12, 0x1000, v3
	s_delay_alu instid0(VALU_DEP_1) | instskip(NEXT) | instid1(VALU_DEP_1)
	v_lshrrev_b32_e32 v13, v11, v12
	v_lshlrev_b32_e32 v11, v11, v13
	v_and_or_b32 v15, 0x1ff, v16, v15
	s_delay_alu instid0(VALU_DEP_1) | instskip(NEXT) | instid1(VALU_DEP_1)
	v_cmp_ne_u32_e64 s1, 0, v15
	v_cndmask_b32_e64 v15, 0, 1, s1
	s_delay_alu instid0(VALU_DEP_4) | instskip(SKIP_2) | instid1(VALU_DEP_3)
	v_cmp_ne_u32_e64 s1, v11, v12
	v_lshrrev_b32_e32 v11, 8, v16
	v_and_or_b32 v6, 0x1ff, v7, v6
	v_cndmask_b32_e64 v12, 0, 1, s1
	s_delay_alu instid0(VALU_DEP_3) | instskip(NEXT) | instid1(VALU_DEP_3)
	v_and_or_b32 v22, 0xffe, v11, v15
	v_cmp_ne_u32_e64 s1, 0, v6
	s_delay_alu instid0(VALU_DEP_3) | instskip(SKIP_2) | instid1(VALU_DEP_4)
	v_or_b32_e32 v11, v13, v12
	v_lshl_or_b32 v12, v14, 12, v3
	v_add_nc_u32_e32 v13, 0xfffffc10, v20
	v_cndmask_b32_e64 v6, 0, 1, s1
	v_cmp_gt_i32_e64 s1, 1, v14
	s_delay_alu instid0(VALU_DEP_1) | instskip(SKIP_1) | instid1(VALU_DEP_1)
	v_cndmask_b32_e64 v11, v12, v11, s1
	v_lshrrev_b32_e32 v12, 8, v7
	v_and_or_b32 v19, 0xffe, v12, v6
	s_delay_alu instid0(VALU_DEP_3) | instskip(SKIP_2) | instid1(VALU_DEP_3)
	v_and_b32_e32 v6, 7, v11
	v_lshrrev_b32_e32 v11, 2, v11
	v_lshl_or_b32 v12, v13, 12, v5
	v_cmp_lt_i32_e64 s1, 5, v6
	v_cmp_eq_u32_e64 s2, 3, v6
	v_cndmask_b32_e64 v6, 0, 1, vcc_lo
	s_delay_alu instid0(VALU_DEP_2) | instskip(NEXT) | instid1(VALU_DEP_1)
	s_or_b32 vcc_lo, s2, s1
	v_or_b32_e32 v6, v23, v6
	v_add_co_ci_u32_e32 v15, vcc_lo, 0, v11, vcc_lo
	v_cmp_ne_u32_e32 vcc_lo, 0, v3
	v_lshrrev_b32_e32 v23, 16, v4
	v_cndmask_b32_e64 v3, 0, 1, vcc_lo
	v_cmp_gt_i32_e32 vcc_lo, 1, v13
	s_delay_alu instid0(VALU_DEP_2)
	v_lshl_or_b32 v3, v3, 9, 0x7c00
	v_cndmask_b32_e32 v6, v12, v6, vcc_lo
	v_cmp_gt_i32_e32 vcc_lo, 31, v14
	ds_load_2addr_b32 v[11:12], v228 offset0:32 offset1:140
	v_cndmask_b32_e32 v15, 0x7c00, v15, vcc_lo
	v_cmp_eq_u32_e32 vcc_lo, 0x40f, v14
	v_and_b32_e32 v14, 7, v6
	s_delay_alu instid0(VALU_DEP_3)
	v_cndmask_b32_e32 v20, v15, v3, vcc_lo
	scratch_load_b32 v3, off, off offset:124 ; 4-byte Folded Reload
	v_cmp_lt_i32_e32 vcc_lo, 5, v14
	v_cmp_eq_u32_e64 s1, 3, v14
	scratch_load_b32 v14, off, off offset:116 ; 4-byte Folded Reload
	v_and_or_b32 v8, 0x8000, v8, v20
	v_cndmask_b32_e64 v20, 0, 1, s0
	s_or_b32 vcc_lo, s1, vcc_lo
	s_delay_alu instid0(VALU_DEP_2)
	v_and_b32_e32 v8, 0xffff, v8
	s_waitcnt vmcnt(1)
	v_mul_f16_e32 v24, v3, v23
	v_mul_f16_e32 v26, v3, v4
	s_waitcnt lgkmcnt(0)
	v_lshrrev_b32_e32 v3, 16, v11
	s_delay_alu instid0(VALU_DEP_3) | instskip(SKIP_2) | instid1(VALU_DEP_3)
	v_fmac_f16_e32 v24, v31, v4
	s_waitcnt vmcnt(0)
	v_mul_f16_e32 v4, v14, v11
	v_mul_f16_e32 v27, v14, v3
	s_delay_alu instid0(VALU_DEP_2) | instskip(SKIP_1) | instid1(VALU_DEP_3)
	v_fma_f16 v28, v29, v3, -v4
	v_cvt_f64_f32_e32 v[3:4], v9
	v_fmac_f16_e32 v27, v29, v11
	v_bfe_u32 v29, v7, 20, 11
	v_lshrrev_b32_e32 v7, 16, v7
	s_delay_alu instid0(VALU_DEP_4) | instskip(SKIP_1) | instid1(VALU_DEP_1)
	v_mul_f64 v[14:15], v[3:4], s[10:11]
	v_lshrrev_b32_e32 v3, 2, v6
	v_add_co_ci_u32_e32 v3, vcc_lo, 0, v3, vcc_lo
	v_cmp_ne_u32_e32 vcc_lo, 0, v5
	v_bfe_u32 v5, v16, 20, 11
	v_cndmask_b32_e64 v4, 0, 1, vcc_lo
	v_cmp_gt_i32_e32 vcc_lo, 31, v13
	s_delay_alu instid0(VALU_DEP_3) | instskip(SKIP_1) | instid1(VALU_DEP_4)
	v_sub_nc_u32_e32 v11, 0x3f1, v5
	v_add_nc_u32_e32 v30, 0xfffffc10, v5
	v_lshl_or_b32 v9, v4, 9, 0x7c00
	v_cndmask_b32_e32 v6, 0x7c00, v3, vcc_lo
	v_cmp_eq_u32_e32 vcc_lo, 0x40f, v13
	v_cvt_f32_f16_e32 v3, v27
	v_med3_i32 v11, v11, 0, 13
	v_or_b32_e32 v13, 0x1000, v22
	v_add_nc_u32_e32 v27, 0xfffffc10, v21
	v_cndmask_b32_e32 v6, v6, v9, vcc_lo
	v_lshl_or_b32 v21, v30, 12, v22
	v_cmp_gt_i32_e64 s0, 1, v30
	v_cvt_f64_f32_e32 v[3:4], v3
	v_cmp_gt_i32_e64 s1, 31, v27
	v_and_or_b32 v6, 0x8000, v2, v6
	v_and_or_b32 v9, 0x1ff, v15, v14
	v_lshrrev_b32_e32 v14, 8, v15
	s_delay_alu instid0(VALU_DEP_2) | instskip(SKIP_2) | instid1(VALU_DEP_2)
	v_cmp_ne_u32_e32 vcc_lo, 0, v9
	v_cndmask_b32_e64 v9, 0, 1, vcc_lo
	v_cmp_gt_i32_e32 vcc_lo, 1, v27
	v_and_or_b32 v2, 0xffe, v14, v9
	v_or_b32_e32 v9, v25, v20
	v_lshl_or_b32 v14, v27, 12, v0
	v_lshl_or_b32 v25, v6, 16, v8
	v_lshrrev_b32_e32 v8, v11, v13
	v_sub_nc_u32_e32 v6, 0x3f1, v29
	s_delay_alu instid0(VALU_DEP_4) | instskip(SKIP_4) | instid1(VALU_DEP_3)
	v_cndmask_b32_e32 v14, v14, v9, vcc_lo
	global_store_b32 v[17:18], v25, off
	v_lshlrev_b32_e32 v9, v11, v8
	v_cvt_f32_f16_e32 v11, v28
	v_med3_i32 v28, v6, 0, 13
	v_cmp_ne_u32_e32 vcc_lo, v9, v13
	s_delay_alu instid0(VALU_DEP_3)
	v_cvt_f64_f32_e32 v[5:6], v11
	v_fma_f16 v11, v31, v23, -v26
	scratch_load_b32 v31, off, off offset:104 ; 4-byte Folded Reload
	v_and_b32_e32 v13, 7, v14
	v_cndmask_b32_e64 v9, 0, 1, vcc_lo
	v_cvt_f32_f16_e32 v11, v11
	s_delay_alu instid0(VALU_DEP_3) | instskip(NEXT) | instid1(VALU_DEP_3)
	v_cmp_lt_i32_e32 vcc_lo, 5, v13
	v_or_b32_e32 v20, v8, v9
	v_mul_f64 v[8:9], v[3:4], s[10:11]
	v_cvt_f32_f16_e32 v3, v24
	v_or_b32_e32 v24, 0x1000, v19
	s_delay_alu instid0(VALU_DEP_4)
	v_cndmask_b32_e64 v23, v21, v20, s0
	v_cmp_eq_u32_e64 s0, 3, v13
	v_lshrrev_b32_e32 v13, 2, v14
	v_cvt_f64_f32_e32 v[20:21], v11
	v_cvt_f64_f32_e32 v[3:4], v3
	v_and_b32_e32 v14, 7, v23
	s_or_b32 vcc_lo, s0, vcc_lo
	v_lshrrev_b32_e32 v26, v28, v24
	v_add_co_ci_u32_e32 v13, vcc_lo, 0, v13, vcc_lo
	v_cmp_ne_u32_e32 vcc_lo, 0, v0
	v_cmp_eq_u32_e64 s0, 3, v14
	s_delay_alu instid0(VALU_DEP_3)
	v_cndmask_b32_e64 v11, 0x7c00, v13, s1
	v_cmp_eq_u32_e64 s1, 0x40f, v27
	v_cndmask_b32_e64 v0, 0, 1, vcc_lo
	v_cmp_lt_i32_e32 vcc_lo, 5, v14
	v_lshrrev_b32_e32 v13, 2, v23
	v_bfe_u32 v23, v15, 20, 11
	v_lshrrev_b32_e32 v15, 16, v15
	v_lshl_or_b32 v0, v0, 9, 0x7c00
	s_or_b32 vcc_lo, s0, vcc_lo
	s_delay_alu instid0(VALU_DEP_1)
	v_cndmask_b32_e64 v0, v11, v0, s1
	v_add_co_ci_u32_e32 v11, vcc_lo, 0, v13, vcc_lo
	v_cmp_ne_u32_e32 vcc_lo, 0, v22
	v_mul_f64 v[13:14], v[5:6], s[10:11]
	v_sub_nc_u32_e32 v5, 0x3f1, v23
	v_and_or_b32 v0, 0x8000, v1, v0
	v_add_nc_u32_e32 v23, 0xfffffc10, v23
	v_cndmask_b32_e64 v22, 0, 1, vcc_lo
	v_cmp_gt_i32_e32 vcc_lo, 31, v30
	v_med3_i32 v27, v5, 0, 13
	v_and_or_b32 v8, 0x1ff, v9, v8
	v_cndmask_b32_e32 v6, 0x7c00, v11, vcc_lo
	v_lshl_or_b32 v11, v22, 9, 0x7c00
	v_cmp_eq_u32_e32 vcc_lo, 0x40f, v30
	v_mul_f64 v[3:4], v[3:4], s[10:11]
	v_lshlrev_b32_e32 v22, v28, v26
	v_or_b32_e32 v28, 0x1000, v2
	v_cndmask_b32_e32 v5, v6, v11, vcc_lo
	v_lshrrev_b32_e32 v6, 16, v16
	v_and_b32_e32 v16, 0xffff, v0
	v_add_co_u32 v0, vcc_lo, v17, s8
	v_add_co_ci_u32_e32 v1, vcc_lo, s9, v18, vcc_lo
	v_lshrrev_b32_e32 v18, 16, v10
	v_and_or_b32 v11, 0x8000, v6, v5
	v_mul_f64 v[5:6], v[20:21], s[10:11]
	v_cmp_ne_u32_e32 vcc_lo, 0, v8
	v_lshrrev_b32_e32 v20, 8, v9
	v_mul_f16_e32 v21, v32, v18
	v_lshl_or_b32 v11, v11, 16, v16
	v_lshrrev_b32_e32 v30, v27, v28
	v_cndmask_b32_e64 v8, 0, 1, vcc_lo
	v_add_co_u32 v16, vcc_lo, v0, s12
	global_store_b32 v[0:1], v11, off
	v_add_co_ci_u32_e32 v17, vcc_lo, s7, v1, vcc_lo
	v_and_or_b32 v0, 0x1ff, v14, v13
	v_and_or_b32 v8, 0xffe, v20, v8
	v_lshlrev_b32_e32 v25, v27, v30
	v_bfe_u32 v11, v9, 20, 11
	v_lshrrev_b32_e32 v9, 16, v9
	v_cmp_ne_u32_e32 vcc_lo, 0, v0
	v_or_b32_e32 v27, 0x1000, v8
	s_delay_alu instid0(VALU_DEP_4)
	v_sub_nc_u32_e32 v13, 0x3f1, v11
	v_add_nc_u32_e32 v11, 0xfffffc10, v11
	v_cndmask_b32_e64 v20, 0, 1, vcc_lo
	v_cmp_ne_u32_e32 vcc_lo, v22, v24
	v_add_nc_u32_e32 v22, 0xfffffc10, v29
	v_and_or_b32 v3, 0x1ff, v4, v3
	v_med3_i32 v13, v13, 0, 13
	s_delay_alu instid0(VALU_DEP_1)
	v_lshrrev_b32_e32 v29, v13, v27
	v_and_or_b32 v5, 0x1ff, v6, v5
	s_waitcnt vmcnt(0)
	v_fmac_f16_e32 v21, v31, v10
	v_mul_f16_e32 v10, v32, v10
	scratch_load_b32 v32, off, off offset:100 ; 4-byte Folded Reload
	v_cvt_f32_f16_e32 v1, v21
	v_lshrrev_b32_e32 v21, 8, v14
	v_fma_f16 v10, v31, v18, -v10
	v_bfe_u32 v31, v4, 20, 11
	s_delay_alu instid0(VALU_DEP_4) | instskip(NEXT) | instid1(VALU_DEP_4)
	v_cvt_f64_f32_e32 v[0:1], v1
	v_and_or_b32 v18, 0xffe, v21, v20
	v_cndmask_b32_e64 v20, 0, 1, vcc_lo
	v_cmp_ne_u32_e32 vcc_lo, 0, v3
	v_lshrrev_b32_e32 v21, 8, v4
	v_lshrrev_b32_e32 v4, 16, v4
	s_delay_alu instid0(VALU_DEP_4)
	v_or_b32_e32 v20, v26, v20
	v_cndmask_b32_e64 v3, 0, 1, vcc_lo
	v_cmp_ne_u32_e32 vcc_lo, v25, v28
	v_lshl_or_b32 v25, v22, 12, v19
	v_lshl_or_b32 v26, v23, 12, v2
	v_lshrrev_b32_e32 v28, 8, v6
	v_cndmask_b32_e64 v24, 0, 1, vcc_lo
	v_cmp_ne_u32_e32 vcc_lo, 0, v5
	s_delay_alu instid0(VALU_DEP_2) | instskip(SKIP_2) | instid1(VALU_DEP_2)
	v_or_b32_e32 v24, v30, v24
	v_cndmask_b32_e64 v5, 0, 1, vcc_lo
	v_cmp_gt_i32_e32 vcc_lo, 1, v22
	v_and_or_b32 v5, 0xffe, v28, v5
	v_cndmask_b32_e32 v25, v25, v20, vcc_lo
	v_cmp_gt_i32_e32 vcc_lo, 1, v23
	v_cvt_f32_f16_e32 v20, v10
	v_and_or_b32 v10, 0xffe, v21, v3
	v_lshlrev_b32_e32 v28, v13, v29
	v_or_b32_e32 v33, 0x1000, v5
	v_cndmask_b32_e32 v24, v26, v24, vcc_lo
	v_and_b32_e32 v26, 7, v25
	v_cvt_f64_f32_e32 v[20:21], v20
	v_lshrrev_b32_e32 v25, 2, v25
	s_delay_alu instid0(VALU_DEP_4) | instskip(NEXT) | instid1(VALU_DEP_4)
	v_and_b32_e32 v3, 7, v24
	v_cmp_lt_i32_e32 vcc_lo, 5, v26
	v_cmp_eq_u32_e64 s0, 3, v26
	v_mul_f64 v[0:1], v[0:1], s[10:11]
	v_lshrrev_b32_e32 v24, 2, v24
	v_cmp_lt_i32_e64 s1, 5, v3
	v_cmp_eq_u32_e64 s2, 3, v3
	s_or_b32 vcc_lo, s0, vcc_lo
	v_bfe_u32 v26, v14, 20, 11
	v_add_co_ci_u32_e32 v3, vcc_lo, 0, v25, vcc_lo
	v_cmp_ne_u32_e32 vcc_lo, 0, v19
	s_delay_alu instid0(VALU_DEP_3) | instskip(SKIP_3) | instid1(VALU_DEP_2)
	v_sub_nc_u32_e32 v25, 0x3f1, v26
	v_add_nc_u32_e32 v26, 0xfffffc10, v26
	v_cndmask_b32_e64 v19, 0, 1, vcc_lo
	v_cmp_gt_i32_e32 vcc_lo, 31, v22
	v_lshl_or_b32 v13, v19, 9, 0x7c00
	v_cndmask_b32_e32 v3, 0x7c00, v3, vcc_lo
	v_cmp_eq_u32_e32 vcc_lo, 0x40f, v22
	v_med3_i32 v19, v25, 0, 13
	v_or_b32_e32 v22, 0x1000, v18
	s_delay_alu instid0(VALU_DEP_4)
	v_cndmask_b32_e32 v13, v3, v13, vcc_lo
	s_or_b32 vcc_lo, s2, s1
	v_cmp_gt_i32_e64 s1, 1, v26
	v_add_co_ci_u32_e32 v3, vcc_lo, 0, v24, vcc_lo
	v_cmp_ne_u32_e32 vcc_lo, 0, v2
	v_and_or_b32 v7, 0x8000, v7, v13
	v_lshrrev_b32_e32 v24, v19, v22
	v_cndmask_b32_e64 v2, 0, 1, vcc_lo
	v_cmp_gt_i32_e32 vcc_lo, 31, v23
	s_delay_alu instid0(VALU_DEP_4) | instskip(SKIP_1) | instid1(VALU_DEP_4)
	v_and_b32_e32 v7, 0xffff, v7
	v_and_or_b32 v0, 0x1ff, v1, v0
	v_lshl_or_b32 v30, v2, 9, 0x7c00
	v_cndmask_b32_e32 v25, 0x7c00, v3, vcc_lo
	v_mul_f64 v[2:3], v[20:21], s[10:11]
	v_cmp_eq_u32_e32 vcc_lo, 0x40f, v23
	v_lshrrev_b32_e32 v23, 16, v12
	v_sub_nc_u32_e32 v21, 0x3f1, v31
	v_cndmask_b32_e32 v20, v25, v30, vcc_lo
	v_cmp_ne_u32_e32 vcc_lo, 0, v0
	v_bfe_u32 v25, v6, 20, 11
	v_lshlrev_b32_e32 v30, v19, v24
	v_med3_i32 v21, v21, 0, 13
	v_and_or_b32 v15, 0x8000, v15, v20
	v_cndmask_b32_e64 v0, 0, 1, vcc_lo
	v_sub_nc_u32_e32 v19, 0x3f1, v25
	v_or_b32_e32 v20, 0x1000, v10
	v_add_nc_u32_e32 v25, 0xfffffc10, v25
	v_lshl_or_b32 v7, v15, 16, v7
	v_lshrrev_b32_e32 v6, 16, v6
	global_store_b32 v[16:17], v7, off
	v_add_co_u32 v16, vcc_lo, v16, s12
	v_add_co_ci_u32_e32 v17, vcc_lo, s7, v17, vcc_lo
	v_cmp_ne_u32_e32 vcc_lo, v28, v27
	v_lshrrev_b32_e32 v27, v21, v20
	s_delay_alu instid0(VALU_DEP_1) | instskip(SKIP_3) | instid1(VALU_DEP_1)
	v_lshlrev_b32_e32 v21, v21, v27
	v_and_or_b32 v2, 0x1ff, v3, v2
	s_waitcnt vmcnt(0)
	v_mul_f16_e32 v13, v32, v23
	v_fmac_f16_e32 v13, v34, v12
	v_mul_f16_e32 v12, v32, v12
	v_med3_i32 v32, v19, 0, 13
	s_delay_alu instid0(VALU_DEP_3) | instskip(NEXT) | instid1(VALU_DEP_3)
	v_cvt_f32_f16_e32 v7, v13
	v_fma_f16 v15, v34, v23, -v12
	v_cndmask_b32_e64 v23, 0, 1, vcc_lo
	v_cmp_gt_i32_e32 vcc_lo, 1, v11
	v_lshrrev_b32_e32 v28, v32, v33
	v_cvt_f64_f32_e32 v[12:13], v7
	v_lshrrev_b32_e32 v7, 8, v1
	v_cvt_f32_f16_e32 v15, v15
	s_delay_alu instid0(VALU_DEP_2) | instskip(SKIP_3) | instid1(VALU_DEP_2)
	v_and_or_b32 v19, 0xffe, v7, v0
	v_or_b32_e32 v0, v29, v23
	v_lshl_or_b32 v7, v11, 12, v8
	v_lshlrev_b32_e32 v23, v32, v28
	v_cndmask_b32_e32 v7, v7, v0, vcc_lo
	v_cmp_ne_u32_e32 vcc_lo, 0, v2
	v_lshrrev_b32_e32 v2, 8, v3
	v_cndmask_b32_e64 v0, 0, 1, vcc_lo
	v_cmp_ne_u32_e32 vcc_lo, v30, v22
	v_and_b32_e32 v22, 7, v7
	v_lshrrev_b32_e32 v7, 2, v7
	s_delay_alu instid0(VALU_DEP_4) | instskip(SKIP_1) | instid1(VALU_DEP_4)
	v_and_or_b32 v0, 0xffe, v2, v0
	v_cndmask_b32_e64 v29, 0, 1, vcc_lo
	v_cmp_lt_i32_e32 vcc_lo, 5, v22
	v_cmp_eq_u32_e64 s0, 3, v22
	v_bfe_u32 v2, v1, 20, 11
	v_or_b32_e32 v35, 0x1000, v0
	v_or_b32_e32 v24, v24, v29
	v_lshl_or_b32 v29, v26, 12, v18
	s_or_b32 vcc_lo, s0, vcc_lo
	v_sub_nc_u32_e32 v22, 0x3f1, v2
	v_add_nc_u32_e32 v2, 0xfffffc10, v2
	v_lshrrev_b32_e32 v1, 16, v1
	v_cndmask_b32_e64 v24, v29, v24, s1
	v_add_co_ci_u32_e32 v29, vcc_lo, 0, v7, vcc_lo
	v_cmp_ne_u32_e32 vcc_lo, 0, v8
	v_mul_f64 v[7:8], v[12:13], s[10:11]
	s_delay_alu instid0(VALU_DEP_4)
	v_and_b32_e32 v32, 7, v24
	v_lshrrev_b32_e32 v24, 2, v24
	ds_load_2addr_b32 v[12:13], v126 offset0:136 offset1:244
	v_cndmask_b32_e64 v30, 0, 1, vcc_lo
	v_cmp_gt_i32_e32 vcc_lo, 31, v11
	v_cmp_eq_u32_e64 s0, 3, v32
	v_cmp_eq_u32_e64 s1, 0x40f, v11
	v_med3_i32 v22, v22, 0, 13
	v_lshl_or_b32 v30, v30, 9, 0x7c00
	v_cndmask_b32_e32 v29, 0x7c00, v29, vcc_lo
	v_cmp_lt_i32_e32 vcc_lo, 5, v32
	v_or_b32_e32 v32, 0x1000, v19
	s_delay_alu instid0(VALU_DEP_3)
	v_cndmask_b32_e64 v11, v29, v30, s1
	s_or_b32 vcc_lo, s0, vcc_lo
	v_cmp_gt_i32_e64 s1, 1, v25
	v_add_co_ci_u32_e32 v24, vcc_lo, 0, v24, vcc_lo
	v_cmp_ne_u32_e32 vcc_lo, 0, v18
	v_and_or_b32 v9, 0x8000, v9, v11
	v_lshrrev_b32_e32 v30, v22, v32
	s_waitcnt lgkmcnt(0)
	v_lshrrev_b32_e32 v34, 16, v12
	v_bfe_u32 v29, v3, 20, 11
	v_cndmask_b32_e64 v18, 0, 1, vcc_lo
	v_cmp_gt_i32_e32 vcc_lo, 31, v26
	v_and_b32_e32 v9, 0xffff, v9
	v_lshrrev_b32_e32 v3, 16, v3
	s_delay_alu instid0(VALU_DEP_4) | instskip(SKIP_3) | instid1(VALU_DEP_3)
	v_lshl_or_b32 v18, v18, 9, 0x7c00
	v_cndmask_b32_e32 v24, 0x7c00, v24, vcc_lo
	v_cmp_eq_u32_e32 vcc_lo, 0x40f, v26
	v_sub_nc_u32_e32 v26, 0x3f1, v29
	v_cndmask_b32_e32 v18, v24, v18, vcc_lo
	v_lshrrev_b32_e32 v24, 16, v14
	v_cmp_ne_u32_e32 vcc_lo, v21, v20
	v_and_or_b32 v7, 0x1ff, v8, v7
	v_cvt_f64_f32_e32 v[14:15], v15
	v_med3_i32 v26, v26, 0, 13
	v_and_or_b32 v11, 0x8000, v24, v18
	v_mul_f16_e32 v18, v38, v34
	v_cndmask_b32_e64 v20, 0, 1, vcc_lo
	v_add_nc_u32_e32 v24, 0xfffffc10, v31
	v_cmp_ne_u32_e32 vcc_lo, 0, v7
	v_lshl_or_b32 v36, v11, 16, v9
	v_fmac_f16_e32 v18, v37, v12
	v_mul_f16_e32 v12, v38, v12
	scratch_load_b32 v38, off, off offset:84 ; 4-byte Folded Reload
	v_or_b32_e32 v20, v27, v20
	v_lshl_or_b32 v21, v24, 12, v10
	v_cndmask_b32_e64 v7, 0, 1, vcc_lo
	v_fma_f16 v12, v37, v34, -v12
	scratch_load_b32 v37, off, off offset:80 ; 4-byte Folded Reload
	v_cvt_f32_f16_e32 v18, v18
	v_cmp_gt_i32_e32 vcc_lo, 1, v24
	v_lshrrev_b32_e32 v31, 8, v8
	global_store_b32 v[16:17], v36, off
	v_cndmask_b32_e32 v27, v21, v20, vcc_lo
	v_cvt_f64_f32_e32 v[20:21], v18
	v_cmp_ne_u32_e32 vcc_lo, v23, v33
	v_lshl_or_b32 v18, v25, 12, v5
	v_and_or_b32 v7, 0xffe, v31, v7
	v_and_b32_e32 v11, 7, v27
	v_lshlrev_b32_e32 v31, v22, v30
	v_cndmask_b32_e64 v9, 0, 1, vcc_lo
	v_lshrrev_b32_e32 v33, v26, v35
	s_delay_alu instid0(VALU_DEP_4) | instskip(SKIP_1) | instid1(VALU_DEP_4)
	v_cmp_lt_i32_e32 vcc_lo, 5, v11
	v_cmp_eq_u32_e64 s0, 3, v11
	v_or_b32_e32 v9, v28, v9
	v_lshrrev_b32_e32 v11, 2, v27
	v_lshlrev_b32_e32 v26, v26, v33
	s_delay_alu instid0(VALU_DEP_4) | instskip(NEXT) | instid1(VALU_DEP_3)
	s_or_b32 vcc_lo, s0, vcc_lo
	v_cndmask_b32_e64 v9, v18, v9, s1
	s_delay_alu instid0(VALU_DEP_3) | instskip(SKIP_2) | instid1(VALU_DEP_4)
	v_add_co_ci_u32_e32 v11, vcc_lo, 0, v11, vcc_lo
	v_cmp_gt_i32_e32 vcc_lo, 31, v24
	v_mul_f64 v[14:15], v[14:15], s[10:11]
	v_and_b32_e32 v22, 7, v9
	v_lshrrev_b32_e32 v9, 2, v9
	v_cmp_ne_u32_e64 s1, 0, v10
	v_cndmask_b32_e32 v27, 0x7c00, v11, vcc_lo
	v_cvt_f32_f16_e32 v11, v12
	v_cmp_lt_i32_e32 vcc_lo, 5, v22
	v_cmp_eq_u32_e64 s0, 3, v22
	v_cndmask_b32_e64 v12, 0, 1, s1
	v_bfe_u32 v18, v8, 20, 11
	v_cvt_f64_f32_e32 v[22:23], v11
	v_lshrrev_b32_e32 v8, 16, v8
	s_or_b32 vcc_lo, s0, vcc_lo
	v_add_co_ci_u32_e32 v11, vcc_lo, 0, v9, vcc_lo
	v_cmp_ne_u32_e32 vcc_lo, 0, v5
	v_mul_f64 v[9:10], v[20:21], s[10:11]
	v_lshl_or_b32 v20, v12, 9, 0x7c00
	v_cndmask_b32_e64 v5, 0, 1, vcc_lo
	v_cmp_gt_i32_e32 vcc_lo, 31, v25
	s_delay_alu instid0(VALU_DEP_2)
	v_lshl_or_b32 v5, v5, 9, 0x7c00
	v_cndmask_b32_e32 v21, 0x7c00, v11, vcc_lo
	ds_load_2addr_b32 v[11:12], v133 offset0:64 offset1:172
	v_cmp_eq_u32_e32 vcc_lo, 0x40f, v24
	v_sub_nc_u32_e32 v24, 0x3f1, v18
	v_add_nc_u32_e32 v18, 0xfffffc10, v18
	v_cndmask_b32_e32 v20, v27, v20, vcc_lo
	v_cmp_eq_u32_e32 vcc_lo, 0x40f, v25
	v_lshrrev_b32_e32 v28, 8, v15
	s_delay_alu instid0(VALU_DEP_3) | instskip(SKIP_4) | instid1(VALU_DEP_4)
	v_and_or_b32 v4, 0x8000, v4, v20
	v_cndmask_b32_e32 v5, v21, v5, vcc_lo
	v_med3_i32 v20, v24, 0, 13
	v_or_b32_e32 v24, 0x1000, v7
	v_add_co_u32 v16, vcc_lo, v16, s8
	v_and_or_b32 v5, 0x8000, v6, v5
	v_and_or_b32 v6, 0x1ff, v15, v14
	v_add_co_ci_u32_e32 v17, vcc_lo, s9, v17, vcc_lo
	s_waitcnt lgkmcnt(0)
	v_lshrrev_b32_e32 v25, 16, v11
	v_and_b32_e32 v4, 0xffff, v4
	v_lshrrev_b32_e32 v27, v20, v24
	v_cmp_ne_u32_e32 vcc_lo, 0, v6
	v_bfe_u32 v34, v15, 20, 11
	v_lshrrev_b32_e32 v15, 16, v15
	v_lshl_or_b32 v4, v5, 16, v4
	v_and_or_b32 v9, 0x1ff, v10, v9
	v_cndmask_b32_e64 v14, 0, 1, vcc_lo
	v_mul_f64 v[5:6], v[22:23], s[10:11]
	v_lshlrev_b32_e32 v36, v20, v27
	v_add_co_u32 v20, vcc_lo, v16, s12
	global_store_b32 v[16:17], v4, off
	v_and_or_b32 v14, 0xffe, v28, v14
	v_sub_nc_u32_e32 v4, 0x3f1, v34
	s_delay_alu instid0(VALU_DEP_2) | instskip(NEXT) | instid1(VALU_DEP_2)
	v_or_b32_e32 v28, 0x1000, v14
	v_med3_i32 v4, v4, 0, 13
	v_and_or_b32 v5, 0x1ff, v6, v5
	s_waitcnt vmcnt(1)
	v_mul_f16_e32 v21, v38, v25
	v_mul_f16_e32 v23, v38, v11
	s_waitcnt vmcnt(0)
	s_delay_alu instid0(VALU_DEP_2) | instskip(NEXT) | instid1(VALU_DEP_2)
	v_fmac_f16_e32 v21, v37, v11
	v_fma_f16 v23, v37, v25, -v23
	v_lshrrev_b32_e32 v25, v4, v28
	v_bfe_u32 v11, v10, 20, 11
	s_delay_alu instid0(VALU_DEP_4) | instskip(SKIP_3) | instid1(VALU_DEP_4)
	v_cvt_f32_f16_e32 v22, v21
	v_add_co_ci_u32_e32 v21, vcc_lo, s7, v17, vcc_lo
	v_cmp_ne_u32_e32 vcc_lo, 0, v9
	v_lshlrev_b32_e32 v37, v4, v25
	v_cvt_f64_f32_e32 v[16:17], v22
	v_lshrrev_b32_e32 v22, 8, v10
	v_cvt_f32_f16_e32 v23, v23
	v_cndmask_b32_e64 v9, 0, 1, vcc_lo
	v_cmp_ne_u32_e32 vcc_lo, v31, v32
	v_sub_nc_u32_e32 v32, 0x3f1, v11
	v_add_nc_u32_e32 v11, 0xfffffc10, v11
	v_lshrrev_b32_e32 v10, 16, v10
	v_and_or_b32 v9, 0xffe, v22, v9
	v_cndmask_b32_e64 v31, 0, 1, vcc_lo
	v_cmp_gt_i32_e32 vcc_lo, 1, v2
	v_med3_i32 v32, v32, 0, 13
	s_delay_alu instid0(VALU_DEP_3) | instskip(SKIP_1) | instid1(VALU_DEP_1)
	v_or_b32_e32 v30, v30, v31
	v_lshl_or_b32 v31, v2, 12, v19
	v_cndmask_b32_e32 v4, v31, v30, vcc_lo
	v_cmp_ne_u32_e32 vcc_lo, v26, v35
	v_add_nc_u32_e32 v26, 0xfffffc10, v29
	v_lshrrev_b32_e32 v35, 8, v6
	v_or_b32_e32 v30, 0x1000, v9
	v_and_b32_e32 v29, 7, v4
	v_cndmask_b32_e64 v22, 0, 1, vcc_lo
	v_cmp_gt_i32_e64 s1, 1, v26
	v_lshrrev_b32_e32 v4, 2, v4
	s_delay_alu instid0(VALU_DEP_4) | instskip(NEXT) | instid1(VALU_DEP_4)
	v_cmp_lt_i32_e32 vcc_lo, 5, v29
	v_or_b32_e32 v31, v33, v22
	v_lshl_or_b32 v33, v26, 12, v0
	v_cvt_f64_f32_e32 v[22:23], v23
	v_cmp_eq_u32_e64 s0, 3, v29
	s_delay_alu instid0(VALU_DEP_3) | instskip(SKIP_1) | instid1(VALU_DEP_3)
	v_cndmask_b32_e64 v29, v33, v31, s1
	v_cmp_ne_u32_e64 s1, 0, v5
	s_or_b32 vcc_lo, s0, vcc_lo
	v_mul_f64 v[16:17], v[16:17], s[10:11]
	v_add_co_ci_u32_e32 v33, vcc_lo, 0, v4, vcc_lo
	v_and_b32_e32 v5, 7, v29
	v_cmp_ne_u32_e32 vcc_lo, 0, v19
	v_lshrrev_b32_e32 v29, 2, v29
	v_cndmask_b32_e64 v31, 0, 1, s1
	v_cmp_gt_i32_e64 s1, 31, v2
	v_cmp_eq_u32_e64 s0, 3, v5
	v_cndmask_b32_e64 v19, 0, 1, vcc_lo
	v_cmp_lt_i32_e32 vcc_lo, 5, v5
	ds_load_2addr_b32 v[4:5], v132 offset0:120 offset1:228
	v_cndmask_b32_e64 v33, 0x7c00, v33, s1
	v_lshl_or_b32 v19, v19, 9, 0x7c00
	s_or_b32 vcc_lo, s0, vcc_lo
	v_cmp_gt_i32_e64 s0, 31, v26
	v_add_co_ci_u32_e32 v29, vcc_lo, 0, v29, vcc_lo
	v_cmp_ne_u32_e32 vcc_lo, 0, v0
	v_cndmask_b32_e64 v0, 0, 1, vcc_lo
	v_cmp_eq_u32_e32 vcc_lo, 0x40f, v2
	s_delay_alu instid0(VALU_DEP_4)
	v_cndmask_b32_e64 v2, 0x7c00, v29, s0
	v_bfe_u32 v29, v6, 20, 11
	v_lshrrev_b32_e32 v6, 16, v6
	v_lshl_or_b32 v0, v0, 9, 0x7c00
	v_cndmask_b32_e32 v19, v33, v19, vcc_lo
	v_cmp_eq_u32_e32 vcc_lo, 0x40f, v26
	s_waitcnt lgkmcnt(0)
	v_lshrrev_b32_e32 v26, 16, v4
	v_sub_nc_u32_e32 v33, 0x3f1, v29
	v_add_nc_u32_e32 v29, 0xfffffc10, v29
	v_and_or_b32 v19, 0x8000, v1, v19
	v_cndmask_b32_e32 v0, v2, v0, vcc_lo
	v_mul_f64 v[1:2], v[22:23], s[10:11]
	v_and_or_b32 v23, 0xffe, v35, v31
	v_lshrrev_b32_e32 v31, v32, v30
	v_med3_i32 v33, v33, 0, 13
	v_and_or_b32 v0, 0x8000, v3, v0
	v_and_b32_e32 v3, 0xffff, v19
	v_mul_f16_e32 v19, v41, v26
	v_or_b32_e32 v35, 0x1000, v23
	v_lshlrev_b32_e32 v32, v32, v31
	s_delay_alu instid0(VALU_DEP_4) | instskip(NEXT) | instid1(VALU_DEP_4)
	v_lshl_or_b32 v0, v0, 16, v3
	v_fmac_f16_e32 v19, v40, v4
	v_and_or_b32 v3, 0x1ff, v17, v16
	v_bfe_u32 v16, v17, 20, 11
	v_mul_f16_e32 v4, v41, v4
	global_store_b32 v[20:21], v0, off
	v_cvt_f32_f16_e32 v0, v19
	v_add_co_u32 v19, vcc_lo, v20, s12
	v_add_co_ci_u32_e32 v20, vcc_lo, s7, v21, vcc_lo
	v_cmp_ne_u32_e32 vcc_lo, 0, v3
	s_delay_alu instid0(VALU_DEP_4)
	v_cvt_f64_f32_e32 v[21:22], v0
	v_lshrrev_b32_e32 v3, 8, v17
	v_fma_f16 v4, v40, v26, -v4
	v_lshrrev_b32_e32 v39, v33, v35
	v_cndmask_b32_e64 v0, 0, 1, vcc_lo
	v_cmp_ne_u32_e32 vcc_lo, v36, v24
	v_sub_nc_u32_e32 v24, 0x3f1, v16
	v_cvt_f32_f16_e32 v4, v4
	v_lshlrev_b32_e32 v33, v33, v39
	v_and_or_b32 v38, 0xffe, v3, v0
	v_cndmask_b32_e64 v36, 0, 1, vcc_lo
	v_cmp_ne_u32_e32 vcc_lo, v37, v28
	v_med3_i32 v0, v24, 0, 13
	v_lshl_or_b32 v24, v18, 12, v7
	v_add_nc_u32_e32 v16, 0xfffffc10, v16
	v_or_b32_e32 v3, v27, v36
	v_cndmask_b32_e64 v28, 0, 1, vcc_lo
	v_cmp_gt_i32_e32 vcc_lo, 1, v18
	v_and_or_b32 v1, 0x1ff, v2, v1
	v_or_b32_e32 v27, 0x1000, v38
	s_delay_alu instid0(VALU_DEP_4) | instskip(SKIP_1) | instid1(VALU_DEP_4)
	v_or_b32_e32 v25, v25, v28
	v_dual_cndmask_b32 v3, v24, v3 :: v_dual_add_nc_u32 v24, 0xfffffc10, v34
	v_cmp_ne_u32_e32 vcc_lo, 0, v1
	s_delay_alu instid0(VALU_DEP_4) | instskip(SKIP_1) | instid1(VALU_DEP_4)
	v_lshrrev_b32_e32 v28, v0, v27
	v_lshrrev_b32_e32 v34, 8, v2
	v_lshl_or_b32 v26, v24, 12, v14
	v_cndmask_b32_e64 v1, 0, 1, vcc_lo
	v_cmp_gt_i32_e32 vcc_lo, 1, v24
	v_lshlrev_b32_e32 v36, v0, v28
	s_delay_alu instid0(VALU_DEP_3) | instskip(SKIP_4) | instid1(VALU_DEP_4)
	v_and_or_b32 v34, 0xffe, v34, v1
	v_dual_cndmask_b32 v25, v26, v25 :: v_dual_and_b32 v26, 7, v3
	v_lshrrev_b32_e32 v3, 2, v3
	v_mul_f64 v[0:1], v[21:22], s[10:11]
	v_bfe_u32 v21, v2, 20, 11
	v_and_b32_e32 v37, 7, v25
	v_cmp_lt_i32_e32 vcc_lo, 5, v26
	v_cmp_eq_u32_e64 s0, 3, v26
	s_delay_alu instid0(VALU_DEP_4) | instskip(NEXT) | instid1(VALU_DEP_4)
	v_sub_nc_u32_e32 v22, 0x3f1, v21
	v_cmp_lt_i32_e64 s1, 5, v37
	v_cmp_eq_u32_e64 s2, 3, v37
	s_delay_alu instid0(VALU_DEP_4)
	s_or_b32 vcc_lo, s0, vcc_lo
	v_cmp_gt_i32_e64 s0, 31, v24
	v_add_co_ci_u32_e32 v3, vcc_lo, 0, v3, vcc_lo
	v_cmp_ne_u32_e32 vcc_lo, 0, v7
	v_cndmask_b32_e64 v7, 0, 1, vcc_lo
	v_cmp_gt_i32_e32 vcc_lo, 31, v18
	s_delay_alu instid0(VALU_DEP_2) | instskip(SKIP_4) | instid1(VALU_DEP_2)
	v_lshl_or_b32 v7, v7, 9, 0x7c00
	v_cndmask_b32_e32 v26, 0x7c00, v3, vcc_lo
	v_lshrrev_b32_e32 v3, 2, v25
	s_or_b32 vcc_lo, s2, s1
	v_cmp_gt_i32_e64 s1, 31, v11
	v_add_co_ci_u32_e32 v25, vcc_lo, 0, v3, vcc_lo
	v_cmp_ne_u32_e32 vcc_lo, 0, v14
	v_cvt_f64_f32_e32 v[3:4], v4
	v_cndmask_b32_e64 v14, 0, 1, vcc_lo
	v_cmp_eq_u32_e32 vcc_lo, 0x40f, v18
	v_cndmask_b32_e64 v18, 0x7c00, v25, s0
	v_and_or_b32 v0, 0x1ff, v1, v0
	v_lshrrev_b32_e32 v25, 16, v13
	v_lshl_or_b32 v14, v14, 9, 0x7c00
	v_cndmask_b32_e32 v7, v26, v7, vcc_lo
	v_cmp_eq_u32_e32 vcc_lo, 0x40f, v24
	s_clause 0x1
	scratch_load_b32 v24, off, off offset:68
	scratch_load_b32 v26, off, off offset:64
	v_and_or_b32 v7, 0x8000, v8, v7
	v_cndmask_b32_e32 v14, v18, v14, vcc_lo
	v_cmp_ne_u32_e32 vcc_lo, 0, v0
	v_med3_i32 v18, v22, 0, 13
	v_or_b32_e32 v22, 0x1000, v34
	v_and_b32_e32 v7, 0xffff, v7
	v_and_or_b32 v14, 0x8000, v15, v14
	v_cndmask_b32_e64 v0, 0, 1, vcc_lo
	v_cmp_ne_u32_e32 vcc_lo, v32, v30
	v_lshrrev_b32_e32 v15, v18, v22
	s_delay_alu instid0(VALU_DEP_1) | instskip(SKIP_3) | instid1(VALU_DEP_1)
	v_lshlrev_b32_e32 v18, v18, v15
	s_waitcnt vmcnt(1)
	v_mul_f16_e32 v8, v24, v25
	s_waitcnt vmcnt(0)
	v_fmac_f16_e32 v8, v26, v13
	v_mul_f16_e32 v13, v24, v13
	v_lshl_or_b32 v24, v14, 16, v7
	v_cndmask_b32_e64 v14, 0, 1, vcc_lo
	v_cmp_ne_u32_e32 vcc_lo, v33, v35
	v_lshrrev_b32_e32 v7, 8, v1
	v_cvt_f32_f16_e32 v8, v8
	v_fma_f16 v25, v26, v25, -v13
	v_or_b32_e32 v13, v31, v14
	v_lshl_or_b32 v14, v11, 12, v9
	v_cndmask_b32_e64 v26, 0, 1, vcc_lo
	v_cmp_gt_i32_e32 vcc_lo, 1, v11
	v_and_or_b32 v0, 0xffe, v7, v0
	v_cvt_f64_f32_e32 v[7:8], v8
	v_cvt_f32_f16_e32 v25, v25
	global_store_b32 v[19:20], v24, off
	v_cndmask_b32_e32 v30, v14, v13, vcc_lo
	v_mul_f64 v[13:14], v[3:4], s[10:11]
	v_or_b32_e32 v3, v39, v26
	v_lshl_or_b32 v4, v29, 12, v23
	v_cmp_gt_i32_e32 vcc_lo, 1, v29
	v_and_b32_e32 v26, 7, v30
	scratch_load_b32 v39, off, off offset:56 ; 4-byte Folded Reload
	v_bfe_u32 v31, v1, 20, 11
	v_lshrrev_b32_e32 v1, 16, v1
	v_cndmask_b32_e32 v33, v4, v3, vcc_lo
	v_cmp_lt_i32_e32 vcc_lo, 5, v26
	v_cmp_eq_u32_e64 s0, 3, v26
	v_lshrrev_b32_e32 v26, 2, v30
	v_cvt_f64_f32_e32 v[3:4], v25
	v_and_b32_e32 v30, 7, v33
	v_sub_nc_u32_e32 v32, 0x3f1, v31
	s_or_b32 vcc_lo, s0, vcc_lo
	v_add_co_ci_u32_e32 v26, vcc_lo, 0, v26, vcc_lo
	s_delay_alu instid0(VALU_DEP_3) | instskip(SKIP_2) | instid1(VALU_DEP_4)
	v_cmp_lt_i32_e32 vcc_lo, 5, v30
	v_cmp_eq_u32_e64 s0, 3, v30
	v_lshrrev_b32_e32 v30, 2, v33
	v_cndmask_b32_e64 v26, 0x7c00, v26, s1
	v_cmp_ne_u32_e64 s1, 0, v9
	v_med3_i32 v25, v32, 0, 13
	s_or_b32 vcc_lo, s0, vcc_lo
	v_cmp_ne_u32_e64 s0, v18, v22
	v_add_co_ci_u32_e32 v30, vcc_lo, 0, v30, vcc_lo
	v_cmp_ne_u32_e32 vcc_lo, 0, v23
	v_cndmask_b32_e64 v9, 0, 1, s1
	v_add_nc_u32_e32 v18, 0xfffffc10, v21
	v_or_b32_e32 v32, 0x1000, v0
	v_cndmask_b32_e64 v23, 0, 1, vcc_lo
	v_cmp_gt_i32_e32 vcc_lo, 31, v29
	v_lshl_or_b32 v33, v9, 9, 0x7c00
	v_mul_f64 v[8:9], v[7:8], s[10:11]
	v_and_or_b32 v13, 0x1ff, v14, v13
	v_lshl_or_b32 v23, v23, 9, 0x7c00
	v_cndmask_b32_e32 v7, 0x7c00, v30, vcc_lo
	scratch_load_b32 v30, off, off offset:60 ; 4-byte Folded Reload
	v_cmp_eq_u32_e32 vcc_lo, 0x40f, v11
	v_cndmask_b32_e32 v11, v26, v33, vcc_lo
	v_cmp_eq_u32_e32 vcc_lo, 0x40f, v29
	v_lshrrev_b32_e32 v29, v25, v32
	v_mul_f64 v[3:4], v[3:4], s[10:11]
	s_delay_alu instid0(VALU_DEP_4)
	v_and_or_b32 v10, 0x8000, v10, v11
	v_cndmask_b32_e32 v7, v7, v23, vcc_lo
	v_cmp_ne_u32_e32 vcc_lo, 0, v13
	v_lshrrev_b32_e32 v13, 8, v14
	v_bfe_u32 v23, v14, 20, 11
	v_and_b32_e32 v10, 0xffff, v10
	v_and_or_b32 v26, 0x8000, v6, v7
	v_cndmask_b32_e64 v11, 0, 1, vcc_lo
	v_add_co_u32 v6, vcc_lo, v19, s8
	v_add_co_ci_u32_e32 v7, vcc_lo, s9, v20, vcc_lo
	s_delay_alu instid0(VALU_DEP_4)
	v_lshl_or_b32 v10, v26, 16, v10
	v_lshlrev_b32_e32 v19, v25, v29
	v_and_or_b32 v13, 0xffe, v13, v11
	v_sub_nc_u32_e32 v11, 0x3f1, v23
	v_lshrrev_b32_e32 v20, 16, v12
	global_store_b32 v[6:7], v10, off
	v_add_co_u32 v6, vcc_lo, v6, s12
	v_add_co_ci_u32_e32 v7, vcc_lo, s7, v7, vcc_lo
	v_cmp_ne_u32_e64 s1, v19, v32
	v_and_or_b32 v8, 0x1ff, v9, v8
	v_med3_i32 v11, v11, 0, 13
	v_or_b32_e32 v26, 0x1000, v13
	v_add_nc_u32_e32 v19, 0xfffffc10, v31
	v_bfe_u32 v25, v9, 20, 11
	v_cmp_ne_u32_e32 vcc_lo, 0, v8
	v_lshrrev_b32_e32 v33, 8, v9
	v_lshrrev_b32_e32 v10, v11, v26
	;; [unrolled: 1-line block ×3, first 2 shown]
	v_sub_nc_u32_e32 v35, 0x3f1, v25
	v_cndmask_b32_e64 v8, 0, 1, vcc_lo
	v_cmp_ne_u32_e32 vcc_lo, v36, v27
	v_lshlrev_b32_e32 v11, v11, v10
	v_and_or_b32 v3, 0x1ff, v4, v3
	s_delay_alu instid0(VALU_DEP_4) | instskip(SKIP_2) | instid1(VALU_DEP_3)
	v_and_or_b32 v8, 0xffe, v33, v8
	v_cndmask_b32_e64 v27, 0, 1, vcc_lo
	v_cmp_gt_i32_e32 vcc_lo, 1, v16
	v_or_b32_e32 v33, 0x1000, v8
	s_delay_alu instid0(VALU_DEP_3) | instskip(SKIP_1) | instid1(VALU_DEP_1)
	v_or_b32_e32 v27, v28, v27
	v_lshl_or_b32 v28, v16, 12, v38
	v_cndmask_b32_e32 v27, v28, v27, vcc_lo
	v_cmp_ne_u32_e32 vcc_lo, 0, v3
	v_lshrrev_b32_e32 v28, 8, v4
	s_delay_alu instid0(VALU_DEP_3) | instskip(SKIP_2) | instid1(VALU_DEP_3)
	v_and_b32_e32 v37, 7, v27
	v_cndmask_b32_e64 v3, 0, 1, vcc_lo
	v_lshrrev_b32_e32 v22, 2, v27
	v_cmp_lt_i32_e32 vcc_lo, 5, v37
	s_delay_alu instid0(VALU_DEP_3) | instskip(SKIP_2) | instid1(VALU_DEP_3)
	v_and_or_b32 v28, 0xffe, v28, v3
	v_cndmask_b32_e64 v3, 0, 1, s0
	v_cmp_eq_u32_e64 s0, 3, v37
	v_or_b32_e32 v21, 0x1000, v28
	s_delay_alu instid0(VALU_DEP_3) | instskip(NEXT) | instid1(VALU_DEP_3)
	v_or_b32_e32 v3, v15, v3
	s_or_b32 vcc_lo, s0, vcc_lo
	v_lshl_or_b32 v15, v18, 12, v34
	v_add_co_ci_u32_e32 v22, vcc_lo, 0, v22, vcc_lo
	v_cmp_ne_u32_e32 vcc_lo, 0, v38
	v_cndmask_b32_e64 v27, 0, 1, vcc_lo
	v_cmp_gt_i32_e32 vcc_lo, 1, v18
	v_cndmask_b32_e32 v3, v15, v3, vcc_lo
	v_cmp_gt_i32_e32 vcc_lo, 31, v16
	v_cndmask_b32_e32 v15, 0x7c00, v22, vcc_lo
	v_lshl_or_b32 v22, v27, 9, 0x7c00
	s_delay_alu instid0(VALU_DEP_4)
	v_and_b32_e32 v27, 7, v3
	v_cmp_eq_u32_e32 vcc_lo, 0x40f, v16
	v_lshrrev_b32_e32 v3, 2, v3
	v_lshrrev_b32_e32 v16, 16, v17
	v_cndmask_b32_e64 v17, 0, 1, s1
	v_cmp_eq_u32_e64 s0, 3, v27
	v_cndmask_b32_e32 v15, v15, v22, vcc_lo
	v_cmp_lt_i32_e32 vcc_lo, 5, v27
	v_lshl_or_b32 v27, v19, 12, v0
	v_or_b32_e32 v17, v29, v17
	s_delay_alu instid0(VALU_DEP_4)
	v_and_or_b32 v15, 0x8000, v16, v15
	s_or_b32 vcc_lo, s0, vcc_lo
	v_cmp_ne_u32_e64 s0, v11, v26
	v_add_co_ci_u32_e32 v3, vcc_lo, 0, v3, vcc_lo
	v_cmp_ne_u32_e32 vcc_lo, 0, v34
	v_and_b32_e32 v15, 0xffff, v15
	s_delay_alu instid0(VALU_DEP_4) | instskip(SKIP_2) | instid1(VALU_DEP_3)
	v_cndmask_b32_e64 v11, 0, 1, s0
	v_cndmask_b32_e64 v22, 0, 1, vcc_lo
	v_cmp_gt_i32_e32 vcc_lo, 31, v18
	v_or_b32_e32 v10, v10, v11
	s_delay_alu instid0(VALU_DEP_3) | instskip(SKIP_4) | instid1(VALU_DEP_2)
	v_lshl_or_b32 v22, v22, 9, 0x7c00
	v_cndmask_b32_e32 v3, 0x7c00, v3, vcc_lo
	v_cmp_gt_i32_e32 vcc_lo, 1, v19
	v_cndmask_b32_e32 v17, v27, v17, vcc_lo
	v_cmp_eq_u32_e32 vcc_lo, 0x40f, v18
	v_dual_cndmask_b32 v18, v3, v22 :: v_dual_and_b32 v27, 7, v17
	v_lshrrev_b32_e32 v17, 2, v17
	v_lshrrev_b32_e32 v22, 16, v2
	s_delay_alu instid0(VALU_DEP_3) | instskip(SKIP_1) | instid1(VALU_DEP_3)
	v_cmp_lt_i32_e32 vcc_lo, 5, v27
	v_cmp_eq_u32_e64 s0, 3, v27
	v_and_or_b32 v16, 0x8000, v22, v18
	v_add_nc_u32_e32 v18, 0xfffffc10, v23
	scratch_load_b32 v23, off, off offset:52 ; 4-byte Folded Reload
	s_or_b32 vcc_lo, s0, vcc_lo
	v_add_co_ci_u32_e32 v17, vcc_lo, 0, v17, vcc_lo
	v_cmp_ne_u32_e32 vcc_lo, 0, v0
	v_lshl_or_b32 v11, v18, 12, v13
	v_lshl_or_b32 v15, v16, 16, v15
	v_cndmask_b32_e64 v0, 0, 1, vcc_lo
	v_cmp_gt_i32_e32 vcc_lo, 1, v18
	global_store_b32 v[6:7], v15, off
	v_lshl_or_b32 v0, v0, 9, 0x7c00
	v_cndmask_b32_e32 v22, v11, v10, vcc_lo
	v_cmp_gt_i32_e32 vcc_lo, 31, v19
	s_delay_alu instid0(VALU_DEP_2) | instskip(SKIP_2) | instid1(VALU_DEP_2)
	v_lshrrev_b32_e32 v16, 2, v22
	v_cndmask_b32_e32 v17, 0x7c00, v17, vcc_lo
	v_cmp_eq_u32_e32 vcc_lo, 0x40f, v19
	v_dual_cndmask_b32 v0, v17, v0 :: v_dual_add_nc_u32 v17, 0xfffffc10, v25
	s_delay_alu instid0(VALU_DEP_1) | instskip(NEXT) | instid1(VALU_DEP_2)
	v_and_or_b32 v0, 0x8000, v1, v0
	v_lshl_or_b32 v19, v17, 12, v8
	s_delay_alu instid0(VALU_DEP_2) | instskip(SKIP_3) | instid1(VALU_DEP_2)
	v_and_b32_e32 v0, 0xffff, v0
	s_waitcnt vmcnt(1)
	v_mul_f16_e32 v24, v30, v20
	v_mul_f16_e32 v30, v30, v12
	v_fmac_f16_e32 v24, v39, v12
	s_delay_alu instid0(VALU_DEP_2) | instskip(SKIP_2) | instid1(VALU_DEP_4)
	v_fma_f16 v20, v39, v20, -v30
	v_med3_i32 v12, v35, 0, 13
	v_bfe_u32 v35, v4, 20, 11
	v_cvt_f32_f16_e32 v24, v24
	s_delay_alu instid0(VALU_DEP_4)
	v_cvt_f32_f16_e32 v10, v20
	v_and_b32_e32 v20, 7, v22
	scratch_load_b32 v22, off, off offset:48 ; 4-byte Folded Reload
	v_lshrrev_b32_e32 v30, v12, v33
	v_cvt_f64_f32_e32 v[2:3], v24
	v_cvt_f64_f32_e32 v[10:11], v10
	v_cmp_lt_i32_e32 vcc_lo, 5, v20
	v_cmp_eq_u32_e64 s0, 3, v20
	v_lshlrev_b32_e32 v12, v12, v30
	v_sub_nc_u32_e32 v36, 0x3f1, v35
	s_delay_alu instid0(VALU_DEP_3) | instskip(NEXT) | instid1(VALU_DEP_2)
	s_or_b32 vcc_lo, s0, vcc_lo
	v_cmp_ne_u32_e64 s1, v12, v33
	v_add_co_ci_u32_e32 v16, vcc_lo, 0, v16, vcc_lo
	v_cmp_ne_u32_e32 vcc_lo, 0, v13
	v_med3_i32 v36, v36, 0, 13
	s_delay_alu instid0(VALU_DEP_4) | instskip(SKIP_2) | instid1(VALU_DEP_4)
	v_cndmask_b32_e64 v12, 0, 1, s1
	v_cndmask_b32_e64 v13, 0, 1, vcc_lo
	v_cmp_gt_i32_e32 vcc_lo, 31, v18
	v_lshrrev_b32_e32 v37, v36, v21
	s_delay_alu instid0(VALU_DEP_4) | instskip(NEXT) | instid1(VALU_DEP_4)
	v_or_b32_e32 v12, v30, v12
	v_lshl_or_b32 v13, v13, 9, 0x7c00
	v_cndmask_b32_e32 v16, 0x7c00, v16, vcc_lo
	v_cmp_gt_i32_e32 vcc_lo, 1, v17
	v_lshlrev_b32_e32 v24, v36, v37
	v_cndmask_b32_e32 v12, v19, v12, vcc_lo
	v_cmp_eq_u32_e32 vcc_lo, 0x40f, v18
	s_delay_alu instid0(VALU_DEP_2)
	v_and_b32_e32 v15, 7, v12
	v_cndmask_b32_e32 v13, v16, v13, vcc_lo
	v_cmp_ne_u32_e32 vcc_lo, v24, v21
	v_lshrrev_b32_e32 v12, 2, v12
	v_mul_f64 v[2:3], v[2:3], s[10:11]
	v_cmp_eq_u32_e64 s0, 3, v15
	v_and_or_b32 v13, 0x8000, v14, v13
	v_cndmask_b32_e64 v1, 0, 1, vcc_lo
	v_cmp_lt_i32_e32 vcc_lo, 5, v15
	v_add_nc_u32_e32 v14, 0xfffffc10, v35
	v_mul_f64 v[10:11], v[10:11], s[10:11]
	v_lshrrev_b32_e32 v16, 16, v5
	v_or_b32_e32 v1, v37, v1
	s_or_b32 vcc_lo, s0, vcc_lo
	v_lshl_or_b32 v15, v14, 12, v28
	v_add_co_ci_u32_e32 v12, vcc_lo, 0, v12, vcc_lo
	v_cmp_gt_i32_e32 vcc_lo, 1, v14
	v_lshl_or_b32 v18, v13, 16, v0
	v_lshrrev_b32_e32 v21, 16, v9
	v_cndmask_b32_e32 v15, v15, v1, vcc_lo
	v_cmp_ne_u32_e32 vcc_lo, 0, v8
	v_cndmask_b32_e64 v8, 0, 1, vcc_lo
	v_cmp_gt_i32_e32 vcc_lo, 31, v17
	s_delay_alu instid0(VALU_DEP_2)
	v_lshl_or_b32 v8, v8, 9, 0x7c00
	v_and_or_b32 v0, 0x1ff, v3, v2
	v_cndmask_b32_e32 v2, 0x7c00, v12, vcc_lo
	v_lshrrev_b32_e32 v13, 8, v3
	v_bfe_u32 v19, v3, 20, 11
	v_lshrrev_b32_e32 v3, 16, v3
	v_cmp_ne_u32_e32 vcc_lo, 0, v0
	v_and_or_b32 v9, 0x1ff, v11, v10
	v_cndmask_b32_e64 v12, 0, 1, vcc_lo
	v_cmp_eq_u32_e32 vcc_lo, 0x40f, v17
	s_delay_alu instid0(VALU_DEP_2) | instskip(SKIP_3) | instid1(VALU_DEP_4)
	v_and_or_b32 v20, 0xffe, v13, v12
	v_dual_cndmask_b32 v17, v2, v8 :: v_dual_and_b32 v8, 7, v15
	v_sub_nc_u32_e32 v2, 0x3f1, v19
	v_add_nc_u32_e32 v19, 0xfffffc10, v19
	v_or_b32_e32 v12, 0x1000, v20
	s_delay_alu instid0(VALU_DEP_4)
	v_and_or_b32 v17, 0x8000, v21, v17
	v_cmp_lt_i32_e32 vcc_lo, 5, v8
	v_cmp_eq_u32_e64 s0, 3, v8
	v_lshrrev_b32_e32 v8, 2, v15
	v_med3_i32 v2, v2, 0, 13
	v_lshl_or_b32 v25, v19, 12, v20
	v_lshrrev_b32_e32 v15, 8, v11
	s_or_b32 vcc_lo, s0, vcc_lo
	v_add_co_ci_u32_e32 v8, vcc_lo, 0, v8, vcc_lo
	v_cmp_ne_u32_e32 vcc_lo, 0, v28
	v_lshrrev_b32_e32 v13, v2, v12
	v_cndmask_b32_e64 v10, 0, 1, vcc_lo
	v_cmp_ne_u32_e32 vcc_lo, 0, v9
	s_delay_alu instid0(VALU_DEP_3) | instskip(NEXT) | instid1(VALU_DEP_3)
	v_lshlrev_b32_e32 v2, v2, v13
	v_lshl_or_b32 v10, v10, 9, 0x7c00
	v_cndmask_b32_e64 v9, 0, 1, vcc_lo
	v_cmp_gt_i32_e32 vcc_lo, 31, v14
	s_delay_alu instid0(VALU_DEP_2) | instskip(SKIP_3) | instid1(VALU_DEP_1)
	v_and_or_b32 v15, 0xffe, v15, v9
	s_waitcnt vmcnt(1)
	v_mul_f16_e32 v1, v23, v16
	s_waitcnt vmcnt(0)
	v_fmac_f16_e32 v1, v22, v5
	v_mul_f16_e32 v5, v23, v5
	v_or_b32_e32 v23, 0x1000, v15
	s_delay_alu instid0(VALU_DEP_3) | instskip(NEXT) | instid1(VALU_DEP_3)
	v_cvt_f32_f16_e32 v0, v1
	v_fma_f16 v5, v22, v16, -v5
	v_cndmask_b32_e32 v22, 0x7c00, v8, vcc_lo
	v_cmp_ne_u32_e32 vcc_lo, v2, v12
	v_bfe_u32 v16, v11, 20, 11
	v_cvt_f64_f32_e32 v[0:1], v0
	v_cvt_f32_f16_e32 v5, v5
	v_cndmask_b32_e64 v2, 0, 1, vcc_lo
	v_cmp_gt_i32_e32 vcc_lo, 1, v19
	s_delay_alu instid0(VALU_DEP_3) | instskip(SKIP_1) | instid1(VALU_DEP_4)
	v_cvt_f64_f32_e32 v[8:9], v5
	v_sub_nc_u32_e32 v5, 0x3f1, v16
	v_or_b32_e32 v24, v13, v2
	s_delay_alu instid0(VALU_DEP_2) | instskip(SKIP_1) | instid1(VALU_DEP_3)
	v_med3_i32 v26, v5, 0, 13
	v_mul_f64 v[12:13], v[0:1], s[10:11]
	v_cndmask_b32_e32 v0, v25, v24, vcc_lo
	v_cmp_eq_u32_e32 vcc_lo, 0x40f, v14
	scratch_load_b32 v25, off, off offset:44 ; 4-byte Folded Reload
	v_lshrrev_b32_e32 v14, 16, v4
	ds_load_2addr_b32 v[1:2], v100 offset0:96 offset1:204
	v_and_b32_e32 v24, 7, v0
	v_cndmask_b32_e32 v10, v22, v10, vcc_lo
	v_add_co_u32 v4, vcc_lo, v6, s12
	v_add_co_ci_u32_e32 v5, vcc_lo, s7, v7, vcc_lo
	s_delay_alu instid0(VALU_DEP_4)
	v_cmp_lt_i32_e32 vcc_lo, 5, v24
	v_cmp_eq_u32_e64 s0, 3, v24
	scratch_load_b32 v24, off, off offset:40 ; 4-byte Folded Reload
	v_lshrrev_b32_e32 v22, v26, v23
	v_lshrrev_b32_e32 v0, 2, v0
	v_and_or_b32 v10, 0x8000, v14, v10
	v_add_nc_u32_e32 v14, 0xfffffc10, v16
	s_or_b32 vcc_lo, s0, vcc_lo
	v_lshlrev_b32_e32 v6, v26, v22
	v_add_co_ci_u32_e32 v0, vcc_lo, 0, v0, vcc_lo
	s_delay_alu instid0(VALU_DEP_3) | instskip(NEXT) | instid1(VALU_DEP_3)
	v_cmp_gt_i32_e32 vcc_lo, 1, v14
	v_cmp_ne_u32_e64 s1, v6, v23
	s_waitcnt lgkmcnt(0)
	v_lshrrev_b32_e32 v16, 16, v1
	s_delay_alu instid0(VALU_DEP_2) | instskip(NEXT) | instid1(VALU_DEP_1)
	v_cndmask_b32_e64 v6, 0, 1, s1
	v_or_b32_e32 v21, v22, v6
	v_lshl_or_b32 v22, v14, 12, v15
	v_mul_f64 v[6:7], v[8:9], s[10:11]
	v_and_b32_e32 v8, 0xffff, v17
	v_and_or_b32 v12, 0x1ff, v13, v12
	s_delay_alu instid0(VALU_DEP_4) | instskip(SKIP_1) | instid1(VALU_DEP_4)
	v_cndmask_b32_e32 v17, v22, v21, vcc_lo
	v_cmp_ne_u32_e32 vcc_lo, 0, v20
	v_lshl_or_b32 v22, v10, 16, v8
	s_delay_alu instid0(VALU_DEP_3) | instskip(SKIP_2) | instid1(VALU_DEP_3)
	v_and_b32_e32 v10, 7, v17
	v_cndmask_b32_e64 v9, 0, 1, vcc_lo
	v_cmp_gt_i32_e32 vcc_lo, 31, v19
	v_cmp_eq_u32_e64 s0, 3, v10
	s_delay_alu instid0(VALU_DEP_3) | instskip(SKIP_3) | instid1(VALU_DEP_3)
	v_lshl_or_b32 v21, v9, 9, 0x7c00
	v_cndmask_b32_e32 v0, 0x7c00, v0, vcc_lo
	v_cmp_eq_u32_e32 vcc_lo, 0x40f, v19
	v_lshrrev_b32_e32 v19, 8, v13
	v_cndmask_b32_e32 v0, v0, v21, vcc_lo
	v_cmp_ne_u32_e32 vcc_lo, 0, v12
	s_delay_alu instid0(VALU_DEP_2) | instskip(SKIP_3) | instid1(VALU_DEP_4)
	v_and_or_b32 v3, 0x8000, v3, v0
	v_cndmask_b32_e64 v12, 0, 1, vcc_lo
	v_cmp_lt_i32_e32 vcc_lo, 5, v10
	v_lshrrev_b32_e32 v0, 2, v17
	v_and_b32_e32 v3, 0xffff, v3
	s_delay_alu instid0(VALU_DEP_4) | instskip(SKIP_1) | instid1(VALU_DEP_3)
	v_and_or_b32 v12, 0xffe, v19, v12
	s_or_b32 vcc_lo, s0, vcc_lo
	v_add_co_ci_u32_e32 v0, vcc_lo, 0, v0, vcc_lo
	v_cmp_ne_u32_e32 vcc_lo, 0, v15
	v_and_or_b32 v6, 0x1ff, v7, v6
	v_or_b32_e32 v17, 0x1000, v12
	v_bfe_u32 v21, v7, 20, 11
	v_cndmask_b32_e64 v15, 0, 1, vcc_lo
	v_cmp_gt_i32_e32 vcc_lo, 31, v14
	s_delay_alu instid0(VALU_DEP_2) | instskip(SKIP_2) | instid1(VALU_DEP_2)
	v_lshl_or_b32 v15, v15, 9, 0x7c00
	v_cndmask_b32_e32 v0, 0x7c00, v0, vcc_lo
	v_cmp_eq_u32_e32 vcc_lo, 0x40f, v14
	v_cndmask_b32_e32 v19, v0, v15, vcc_lo
	v_cmp_ne_u32_e32 vcc_lo, 0, v6
	v_lshrrev_b32_e32 v6, 8, v7
	v_lshrrev_b32_e32 v7, 16, v7
	v_cndmask_b32_e64 v0, 0, 1, vcc_lo
	s_waitcnt vmcnt(1)
	v_mul_f16_e32 v23, v25, v16
	s_waitcnt vmcnt(0)
	s_delay_alu instid0(VALU_DEP_1) | instskip(SKIP_1) | instid1(VALU_DEP_2)
	v_fmac_f16_e32 v23, v24, v1
	v_mul_f16_e32 v1, v25, v1
	v_cvt_f32_f16_e32 v20, v23
	s_delay_alu instid0(VALU_DEP_2)
	v_fma_f16 v1, v24, v16, -v1
	v_and_or_b32 v24, 0xffe, v6, v0
	v_sub_nc_u32_e32 v6, 0x3f1, v21
	v_lshrrev_b32_e32 v23, 16, v11
	v_cvt_f64_f32_e32 v[8:9], v20
	v_bfe_u32 v20, v13, 20, 11
	v_or_b32_e32 v25, 0x1000, v24
	v_med3_i32 v6, v6, 0, 13
	v_cvt_f32_f16_e32 v1, v1
	v_and_or_b32 v19, 0x8000, v23, v19
	v_sub_nc_u32_e32 v10, 0x3f1, v20
	v_add_nc_u32_e32 v20, 0xfffffc10, v20
	v_lshrrev_b32_e32 v23, v6, v25
	v_cvt_f64_f32_e32 v[14:15], v1
	ds_load_2addr_b32 v[0:1], v149 offset0:24 offset1:132
	v_med3_i32 v10, v10, 0, 13
	v_add_nc_u32_e32 v21, 0xfffffc10, v21
	s_delay_alu instid0(VALU_DEP_2) | instskip(NEXT) | instid1(VALU_DEP_2)
	v_lshrrev_b32_e32 v16, v10, v17
	v_cmp_gt_i32_e64 s1, 1, v21
	s_delay_alu instid0(VALU_DEP_2) | instskip(NEXT) | instid1(VALU_DEP_1)
	v_lshlrev_b32_e32 v10, v10, v16
	v_cmp_ne_u32_e32 vcc_lo, v10, v17
	v_cndmask_b32_e64 v17, 0, 1, vcc_lo
	v_add_co_u32 v10, vcc_lo, v4, s8
	v_add_co_ci_u32_e32 v11, vcc_lo, s9, v5, vcc_lo
	global_store_b32 v[4:5], v18, off
	global_store_b32 v[10:11], v22, off
	v_lshlrev_b32_e32 v4, v6, v23
	scratch_load_b32 v22, off, off offset:36 ; 4-byte Folded Reload
	v_mul_f64 v[8:9], v[8:9], s[10:11]
	v_or_b32_e32 v16, v16, v17
	v_lshl_or_b32 v17, v20, 12, v12
	v_cmp_ne_u32_e64 s0, v4, v25
	s_clause 0x1
	scratch_load_b32 v25, off, off offset:32
	scratch_load_b32 v26, off, off offset:28
	v_cmp_gt_i32_e32 vcc_lo, 1, v20
	s_waitcnt lgkmcnt(0)
	v_lshrrev_b32_e32 v18, 16, v0
	v_cndmask_b32_e64 v4, 0, 1, s0
	scratch_load_b32 v28, off, off offset:12 ; 4-byte Folded Reload
	v_cndmask_b32_e32 v16, v17, v16, vcc_lo
	v_lshl_or_b32 v17, v19, 16, v3
	v_add_co_u32 v5, vcc_lo, v10, s12
	v_add_co_ci_u32_e32 v6, vcc_lo, s7, v11, vcc_lo
	s_delay_alu instid0(VALU_DEP_4)
	v_and_b32_e32 v3, 7, v16
	v_mul_f64 v[10:11], v[14:15], s[10:11]
	v_lshrrev_b32_e32 v14, 2, v16
	global_store_b32 v[5:6], v17, off
	v_cmp_lt_i32_e32 vcc_lo, 5, v3
	v_cmp_eq_u32_e64 s0, 3, v3
	v_or_b32_e32 v3, v23, v4
	v_lshl_or_b32 v4, v21, 12, v24
	v_lshrrev_b32_e32 v23, 16, v13
	s_delay_alu instid0(VALU_DEP_4) | instskip(NEXT) | instid1(VALU_DEP_2)
	s_or_b32 vcc_lo, s0, vcc_lo
	v_cndmask_b32_e64 v16, v4, v3, s1
	v_add_co_ci_u32_e32 v14, vcc_lo, 0, v14, vcc_lo
	v_cmp_ne_u32_e32 vcc_lo, 0, v12
	v_and_or_b32 v8, 0x1ff, v9, v8
	v_cndmask_b32_e64 v12, 0, 1, vcc_lo
	s_delay_alu instid0(VALU_DEP_2) | instskip(NEXT) | instid1(VALU_DEP_2)
	v_cmp_ne_u32_e64 s1, 0, v8
	v_lshl_or_b32 v12, v12, 9, 0x7c00
	s_delay_alu instid0(VALU_DEP_2) | instskip(SKIP_1) | instid1(VALU_DEP_1)
	v_cndmask_b32_e64 v8, 0, 1, s1
	v_cmp_gt_i32_e64 s1, 31, v20
	v_cndmask_b32_e64 v14, 0x7c00, v14, s1
	v_and_or_b32 v10, 0x1ff, v11, v10
	s_waitcnt vmcnt(3)
	v_mul_f16_e32 v19, v22, v18
	s_waitcnt vmcnt(2)
	s_delay_alu instid0(VALU_DEP_1) | instskip(SKIP_2) | instid1(VALU_DEP_3)
	v_fmac_f16_e32 v19, v25, v0
	v_mul_f16_e32 v0, v22, v0
	v_bfe_u32 v22, v9, 20, 11
	v_cvt_f32_f16_e32 v15, v19
	v_lshrrev_b32_e32 v19, 8, v9
	s_delay_alu instid0(VALU_DEP_4) | instskip(SKIP_1) | instid1(VALU_DEP_4)
	v_fma_f16 v0, v25, v18, -v0
	v_bfe_u32 v25, v11, 20, 11
	v_cvt_f64_f32_e32 v[3:4], v15
	s_delay_alu instid0(VALU_DEP_4)
	v_and_or_b32 v19, 0xffe, v19, v8
	v_and_b32_e32 v8, 7, v16
	v_sub_nc_u32_e32 v15, 0x3f1, v22
	v_lshrrev_b32_e32 v16, 2, v16
	v_cvt_f32_f16_e32 v0, v0
	v_add_nc_u32_e32 v22, 0xfffffc10, v22
	v_cmp_lt_i32_e32 vcc_lo, 5, v8
	v_cmp_eq_u32_e64 s0, 3, v8
	v_or_b32_e32 v8, 0x1000, v19
	v_med3_i32 v15, v15, 0, 13
	s_delay_alu instid0(VALU_DEP_3) | instskip(SKIP_1) | instid1(VALU_DEP_2)
	s_or_b32 vcc_lo, s0, vcc_lo
	v_add_co_ci_u32_e32 v16, vcc_lo, 0, v16, vcc_lo
	v_lshrrev_b32_e32 v18, v15, v8
	v_cmp_eq_u32_e32 vcc_lo, 0x40f, v20
	v_cndmask_b32_e32 v20, v14, v12, vcc_lo
	s_delay_alu instid0(VALU_DEP_3) | instskip(SKIP_2) | instid1(VALU_DEP_4)
	v_lshlrev_b32_e32 v14, v15, v18
	v_cmp_gt_i32_e32 vcc_lo, 31, v21
	v_cvt_f64_f32_e32 v[12:13], v0
	v_and_or_b32 v20, 0x8000, v23, v20
	v_cndmask_b32_e32 v0, 0x7c00, v16, vcc_lo
	v_cmp_ne_u32_e32 vcc_lo, v14, v8
	v_lshrrev_b32_e32 v16, 8, v11
	s_delay_alu instid0(VALU_DEP_4) | instskip(SKIP_4) | instid1(VALU_DEP_4)
	v_and_b32_e32 v17, 0xffff, v20
	v_cndmask_b32_e64 v8, 0, 1, vcc_lo
	v_cmp_ne_u32_e32 vcc_lo, 0, v10
	v_mul_f64 v[14:15], v[3:4], s[10:11]
	v_sub_nc_u32_e32 v4, 0x3f1, v25
	v_or_b32_e32 v8, v18, v8
	v_cndmask_b32_e64 v10, 0, 1, vcc_lo
	v_cmp_ne_u32_e32 vcc_lo, 0, v24
	s_delay_alu instid0(VALU_DEP_4) | instskip(NEXT) | instid1(VALU_DEP_3)
	v_med3_i32 v24, v4, 0, 13
	v_and_or_b32 v10, 0xffe, v16, v10
	v_cndmask_b32_e64 v3, 0, 1, vcc_lo
	v_lshl_or_b32 v16, v22, 12, v19
	v_cmp_gt_i32_e32 vcc_lo, 1, v22
	s_delay_alu instid0(VALU_DEP_4) | instskip(NEXT) | instid1(VALU_DEP_4)
	v_or_b32_e32 v18, 0x1000, v10
	v_lshl_or_b32 v3, v3, 9, 0x7c00
	s_delay_alu instid0(VALU_DEP_4) | instskip(SKIP_1) | instid1(VALU_DEP_4)
	v_cndmask_b32_e32 v8, v16, v8, vcc_lo
	v_cmp_eq_u32_e32 vcc_lo, 0x40f, v21
	v_lshrrev_b32_e32 v16, v24, v18
	s_delay_alu instid0(VALU_DEP_3) | instskip(NEXT) | instid1(VALU_DEP_2)
	v_dual_cndmask_b32 v0, v0, v3 :: v_dual_and_b32 v21, 7, v8
	v_lshlrev_b32_e32 v23, v24, v16
	v_lshrrev_b32_e32 v20, 2, v8
	ds_load_2addr_b32 v[3:4], v185 offset0:80 offset1:188
	v_cmp_lt_i32_e32 vcc_lo, 5, v21
	v_cmp_eq_u32_e64 s0, 3, v21
	v_add_nc_u32_e32 v21, 0xfffffc10, v25
	scratch_load_b32 v25, off, off offset:24 ; 4-byte Folded Reload
	v_cmp_ne_u32_e64 s1, v23, v18
	v_and_or_b32 v0, 0x8000, v7, v0
	v_mul_f64 v[7:8], v[12:13], s[10:11]
	s_or_b32 vcc_lo, s0, vcc_lo
	v_add_co_ci_u32_e32 v12, vcc_lo, 0, v20, vcc_lo
	v_cndmask_b32_e64 v18, 0, 1, s1
	v_cmp_ne_u32_e32 vcc_lo, 0, v19
	v_and_or_b32 v14, 0x1ff, v15, v14
	v_lshrrev_b32_e32 v23, 8, v15
	v_bfe_u32 v24, v15, 20, 11
	v_or_b32_e32 v13, v16, v18
	v_lshl_or_b32 v16, v21, 12, v10
	v_cndmask_b32_e64 v19, 0, 1, vcc_lo
	v_cmp_gt_i32_e32 vcc_lo, 1, v21
	s_waitcnt lgkmcnt(0)
	v_lshrrev_b32_e32 v18, 16, v3
	v_cmp_eq_u32_e64 s1, 0x40f, v22
	v_lshl_or_b32 v0, v0, 16, v17
	v_lshl_or_b32 v19, v19, 9, 0x7c00
	v_cndmask_b32_e32 v16, v16, v13, vcc_lo
	v_cmp_gt_i32_e32 vcc_lo, 31, v22
	s_waitcnt vmcnt(2)
	v_mul_f16_e32 v13, v26, v18
	v_cndmask_b32_e32 v20, 0x7c00, v12, vcc_lo
	v_cmp_ne_u32_e32 vcc_lo, 0, v14
	v_and_b32_e32 v12, 7, v16
	v_lshrrev_b32_e32 v16, 2, v16
	s_delay_alu instid0(VALU_DEP_4) | instskip(SKIP_1) | instid1(VALU_DEP_4)
	v_cndmask_b32_e64 v19, v20, v19, s1
	v_cndmask_b32_e64 v14, 0, 1, vcc_lo
	v_cmp_lt_i32_e32 vcc_lo, 5, v12
	v_cmp_eq_u32_e64 s0, 3, v12
	s_delay_alu instid0(VALU_DEP_3) | instskip(SKIP_1) | instid1(VALU_DEP_3)
	v_and_or_b32 v23, 0xffe, v23, v14
	v_sub_nc_u32_e32 v14, 0x3f1, v24
	s_or_b32 vcc_lo, s0, vcc_lo
	v_and_or_b32 v7, 0x1ff, v8, v7
	v_add_co_ci_u32_e32 v16, vcc_lo, 0, v16, vcc_lo
	v_or_b32_e32 v20, 0x1000, v23
	v_med3_i32 v14, v14, 0, 13
	v_cmp_ne_u32_e32 vcc_lo, 0, v10
	v_bfe_u32 v27, v8, 20, 11
	s_delay_alu instid0(VALU_DEP_3) | instskip(SKIP_2) | instid1(VALU_DEP_3)
	v_lshrrev_b32_e32 v22, v14, v20
	v_cndmask_b32_e64 v10, 0, 1, vcc_lo
	v_cmp_gt_i32_e32 vcc_lo, 31, v21
	v_lshlrev_b32_e32 v14, v14, v22
	v_cndmask_b32_e32 v16, 0x7c00, v16, vcc_lo
	v_cmp_ne_u32_e32 vcc_lo, 0, v7
	v_cndmask_b32_e64 v7, 0, 1, vcc_lo
	s_delay_alu instid0(VALU_DEP_4) | instskip(SKIP_3) | instid1(VALU_DEP_2)
	v_cmp_ne_u32_e32 vcc_lo, v14, v20
	v_add_nc_u32_e32 v20, 0xfffffc10, v24
	v_sub_nc_u32_e32 v14, 0x3f1, v27
	v_lshrrev_b32_e32 v24, 16, v11
	v_med3_i32 v14, v14, 0, 13
	s_waitcnt vmcnt(0)
	v_fmac_f16_e32 v13, v25, v3
	v_mul_f16_e32 v3, v26, v3
	v_lshrrev_b32_e32 v26, 8, v8
	v_lshrrev_b32_e32 v8, 16, v8
	s_delay_alu instid0(VALU_DEP_4) | instskip(NEXT) | instid1(VALU_DEP_4)
	v_cvt_f32_f16_e32 v13, v13
	v_fma_f16 v3, v25, v18, -v3
	v_lshrrev_b32_e32 v18, 16, v9
	v_lshl_or_b32 v25, v10, 9, 0x7c00
	v_and_or_b32 v7, 0xffe, v26, v7
	scratch_load_b32 v26, off, off offset:16 ; 4-byte Folded Reload
	v_cvt_f32_f16_e32 v3, v3
	v_cvt_f64_f32_e32 v[12:13], v13
	s_delay_alu instid0(VALU_DEP_2) | instskip(SKIP_3) | instid1(VALU_DEP_3)
	v_cvt_f64_f32_e32 v[9:10], v3
	v_cndmask_b32_e64 v3, 0, 1, vcc_lo
	v_cmp_eq_u32_e32 vcc_lo, 0x40f, v21
	v_lshl_or_b32 v21, v20, 12, v23
	v_or_b32_e32 v3, v22, v3
	v_cndmask_b32_e32 v16, v16, v25, vcc_lo
	scratch_load_b32 v25, off, off offset:20 ; 4-byte Folded Reload
	v_cmp_gt_i32_e32 vcc_lo, 1, v20
	v_or_b32_e32 v22, 0x1000, v7
	v_and_or_b32 v16, 0x8000, v24, v16
	v_lshrrev_b32_e32 v24, 16, v2
	v_cndmask_b32_e32 v3, v21, v3, vcc_lo
	v_mul_f64 v[11:12], v[12:13], s[10:11]
	v_and_or_b32 v13, 0x8000, v18, v19
	v_lshrrev_b32_e32 v18, v14, v22
	s_delay_alu instid0(VALU_DEP_4)
	v_and_b32_e32 v19, 7, v3
	v_lshrrev_b32_e32 v3, 2, v3
	v_mul_f64 v[9:10], v[9:10], s[10:11]
	v_and_b32_e32 v17, 0xffff, v13
	v_add_co_u32 v13, vcc_lo, v5, s12
	v_lshlrev_b32_e32 v21, v14, v18
	v_add_co_ci_u32_e32 v14, vcc_lo, s7, v6, vcc_lo
	v_cmp_lt_i32_e32 vcc_lo, 5, v19
	v_cmp_eq_u32_e64 s0, 3, v19
	s_delay_alu instid0(VALU_DEP_4) | instskip(SKIP_2) | instid1(VALU_DEP_4)
	v_cmp_ne_u32_e64 s1, v21, v22
	v_add_nc_u32_e32 v19, 0xfffffc10, v27
	v_lshl_or_b32 v22, v16, 16, v17
	s_or_b32 vcc_lo, s0, vcc_lo
	s_delay_alu instid0(VALU_DEP_3) | instskip(SKIP_2) | instid1(VALU_DEP_3)
	v_cndmask_b32_e64 v6, 0, 1, s1
	v_add_co_ci_u32_e32 v3, vcc_lo, 0, v3, vcc_lo
	v_cmp_ne_u32_e32 vcc_lo, 0, v23
	v_or_b32_e32 v6, v18, v6
	v_lshl_or_b32 v18, v19, 12, v7
	v_cndmask_b32_e64 v21, 0, 1, vcc_lo
	v_cmp_gt_i32_e32 vcc_lo, 1, v19
	s_delay_alu instid0(VALU_DEP_2) | instskip(NEXT) | instid1(VALU_DEP_4)
	v_lshl_or_b32 v21, v21, 9, 0x7c00
	v_cndmask_b32_e32 v18, v18, v6, vcc_lo
	v_cmp_gt_i32_e32 vcc_lo, 31, v20
	v_and_or_b32 v11, 0x1ff, v12, v11
	v_cndmask_b32_e32 v3, 0x7c00, v3, vcc_lo
	s_delay_alu instid0(VALU_DEP_4) | instskip(NEXT) | instid1(VALU_DEP_3)
	v_and_b32_e32 v23, 7, v18
	v_cmp_ne_u32_e64 s0, 0, v11
	v_lshrrev_b32_e32 v11, 8, v12
	v_and_or_b32 v9, 0x1ff, v10, v9
	s_waitcnt vmcnt(0)
	v_mul_f16_e32 v5, v25, v24
	s_delay_alu instid0(VALU_DEP_1) | instskip(SKIP_1) | instid1(VALU_DEP_2)
	v_fmac_f16_e32 v5, v26, v2
	v_mul_f16_e32 v2, v25, v2
	v_cvt_f32_f16_e32 v5, v5
	s_delay_alu instid0(VALU_DEP_2) | instskip(NEXT) | instid1(VALU_DEP_2)
	v_fma_f16 v24, v26, v24, -v2
	v_cvt_f64_f32_e32 v[16:17], v5
	v_add_co_u32 v5, vcc_lo, v13, s8
	v_add_co_ci_u32_e32 v6, vcc_lo, s9, v14, vcc_lo
	v_cmp_eq_u32_e32 vcc_lo, 0x40f, v20
	v_cndmask_b32_e32 v20, v3, v21, vcc_lo
	v_cmp_lt_i32_e32 vcc_lo, 5, v23
	v_cndmask_b32_e64 v3, 0, 1, s0
	v_cmp_eq_u32_e64 s0, 3, v23
	v_lshrrev_b32_e32 v23, 16, v15
	v_lshrrev_b32_e32 v15, 2, v18
	v_bfe_u32 v21, v12, 20, 11
	v_and_or_b32 v11, 0xffe, v11, v3
	s_or_b32 vcc_lo, s0, vcc_lo
	v_and_or_b32 v20, 0x8000, v23, v20
	v_add_co_ci_u32_e32 v15, vcc_lo, 0, v15, vcc_lo
	v_sub_nc_u32_e32 v3, 0x3f1, v21
	v_cmp_ne_u32_e32 vcc_lo, 0, v7
	v_or_b32_e32 v18, 0x1000, v11
	v_lshrrev_b32_e32 v12, 16, v12
	s_delay_alu instid0(VALU_DEP_4) | instskip(SKIP_2) | instid1(VALU_DEP_3)
	v_med3_i32 v3, v3, 0, 13
	v_cndmask_b32_e64 v7, 0, 1, vcc_lo
	v_cmp_gt_i32_e32 vcc_lo, 31, v19
	v_lshrrev_b32_e32 v25, v3, v18
	s_delay_alu instid0(VALU_DEP_3)
	v_lshl_or_b32 v7, v7, 9, 0x7c00
	v_cndmask_b32_e32 v26, 0x7c00, v15, vcc_lo
	v_cmp_ne_u32_e32 vcc_lo, 0, v9
	v_cvt_f32_f16_e32 v15, v24
	v_lshlrev_b32_e32 v27, v3, v25
	v_mul_f64 v[2:3], v[16:17], s[10:11]
	v_lshrrev_b32_e32 v17, 8, v10
	v_cndmask_b32_e64 v9, 0, 1, vcc_lo
	v_cmp_eq_u32_e32 vcc_lo, 0x40f, v19
	v_add_nc_u32_e32 v19, 0xfffffc10, v21
	v_bfe_u32 v24, v10, 20, 11
	v_cvt_f64_f32_e32 v[15:16], v15
	v_and_or_b32 v9, 0xffe, v17, v9
	v_cndmask_b32_e32 v7, v26, v7, vcc_lo
	v_cmp_ne_u32_e32 vcc_lo, v27, v18
	v_sub_nc_u32_e32 v17, 0x3f1, v24
	v_lshrrev_b32_e32 v26, 16, v1
	v_or_b32_e32 v21, 0x1000, v9
	v_and_or_b32 v7, 0x8000, v8, v7
	v_cndmask_b32_e64 v18, 0, 1, vcc_lo
	v_cmp_gt_i32_e32 vcc_lo, 1, v19
	v_med3_i32 v17, v17, 0, 13
	v_lshrrev_b32_e32 v10, 16, v10
	s_delay_alu instid0(VALU_DEP_4) | instskip(SKIP_1) | instid1(VALU_DEP_4)
	v_or_b32_e32 v18, v25, v18
	v_lshl_or_b32 v25, v19, 12, v11
	v_lshrrev_b32_e32 v27, v17, v21
	s_delay_alu instid0(VALU_DEP_2)
	v_cndmask_b32_e32 v18, v25, v18, vcc_lo
	scratch_load_b32 v25, off, off offset:8 ; 4-byte Folded Reload
	v_lshlrev_b32_e32 v8, v17, v27
	v_and_b32_e32 v17, 0xffff, v20
	global_store_b32 v[13:14], v0, off
	global_store_b32 v[5:6], v22, off
	v_and_b32_e32 v20, 7, v18
	v_lshrrev_b32_e32 v18, 2, v18
	v_cmp_ne_u32_e64 s0, v8, v21
	v_lshl_or_b32 v0, v7, 16, v17
	v_add_nc_u32_e32 v17, 0xfffffc10, v24
	v_cmp_lt_i32_e32 vcc_lo, 5, v20
	v_mul_f16_e32 v23, v28, v26
	v_cndmask_b32_e64 v13, 0, 1, s0
	v_cmp_eq_u32_e64 s0, 3, v20
	v_and_or_b32 v2, 0x1ff, v3, v2
	v_lshl_or_b32 v21, v17, 12, v9
	scratch_load_b32 v24, off, off          ; 4-byte Folded Reload
	v_or_b32_e32 v20, v27, v13
	s_or_b32 vcc_lo, s0, vcc_lo
	v_cmp_ne_u32_e64 s1, 0, v2
	v_add_co_ci_u32_e32 v18, vcc_lo, 0, v18, vcc_lo
	v_cmp_gt_i32_e32 vcc_lo, 1, v17
	v_mul_f64 v[13:14], v[15:16], s[10:11]
	s_delay_alu instid0(VALU_DEP_4)
	v_cndmask_b32_e64 v2, 0, 1, s1
	v_lshrrev_b32_e32 v15, 8, v3
	v_bfe_u32 v16, v3, 20, 11
	v_cndmask_b32_e32 v20, v21, v20, vcc_lo
	v_cmp_ne_u32_e32 vcc_lo, 0, v11
	v_cmp_eq_u32_e64 s1, 0x40f, v19
	v_and_or_b32 v15, 0xffe, v15, v2
	v_sub_nc_u32_e32 v2, 0x3f1, v16
	v_and_b32_e32 v21, 7, v20
	v_cndmask_b32_e64 v11, 0, 1, vcc_lo
	v_cmp_gt_i32_e32 vcc_lo, 31, v19
	v_or_b32_e32 v22, 0x1000, v15
	v_med3_i32 v2, v2, 0, 13
	v_cmp_eq_u32_e64 s0, 3, v21
	v_lshl_or_b32 v11, v11, 9, 0x7c00
	v_cndmask_b32_e32 v18, 0x7c00, v18, vcc_lo
	v_cmp_lt_i32_e32 vcc_lo, 5, v21
	v_lshrrev_b32_e32 v20, 2, v20
	v_add_nc_u32_e32 v16, 0xfffffc10, v16
	v_lshrrev_b32_e32 v21, 16, v4
	v_cndmask_b32_e64 v11, v18, v11, s1
	s_or_b32 vcc_lo, s0, vcc_lo
	v_lshrrev_b32_e32 v3, 16, v3
	v_add_co_ci_u32_e32 v18, vcc_lo, 0, v20, vcc_lo
	v_cmp_ne_u32_e32 vcc_lo, 0, v9
	v_lshl_or_b32 v19, v16, 12, v15
	v_and_or_b32 v20, 0x8000, v12, v11
	v_cndmask_b32_e64 v9, 0, 1, vcc_lo
	s_delay_alu instid0(VALU_DEP_2) | instskip(NEXT) | instid1(VALU_DEP_2)
	v_and_b32_e32 v20, 0xffff, v20
	v_lshl_or_b32 v9, v9, 9, 0x7c00
	v_and_or_b32 v13, 0x1ff, v14, v13
	s_waitcnt vmcnt(1)
	v_fmac_f16_e32 v23, v25, v1
	v_mul_f16_e32 v1, v28, v1
	s_delay_alu instid0(VALU_DEP_2) | instskip(SKIP_1) | instid1(VALU_DEP_3)
	v_cvt_f32_f16_e32 v7, v23
	v_lshrrev_b32_e32 v23, v2, v22
	v_fma_f16 v1, v25, v26, -v1
	s_delay_alu instid0(VALU_DEP_3) | instskip(NEXT) | instid1(VALU_DEP_3)
	v_cvt_f64_f32_e32 v[7:8], v7
	v_lshlrev_b32_e32 v2, v2, v23
	s_delay_alu instid0(VALU_DEP_3) | instskip(NEXT) | instid1(VALU_DEP_2)
	v_cvt_f32_f16_e32 v1, v1
	v_cmp_ne_u32_e32 vcc_lo, v2, v22
	v_cndmask_b32_e64 v2, 0, 1, vcc_lo
	v_cmp_gt_i32_e32 vcc_lo, 31, v17
	s_delay_alu instid0(VALU_DEP_2)
	v_or_b32_e32 v2, v23, v2
	scratch_load_b32 v23, off, off offset:4 ; 4-byte Folded Reload
	v_cndmask_b32_e32 v18, 0x7c00, v18, vcc_lo
	v_cmp_gt_i32_e32 vcc_lo, 1, v16
	v_cndmask_b32_e32 v11, v19, v2, vcc_lo
	v_cmp_ne_u32_e32 vcc_lo, 0, v13
	v_lshrrev_b32_e32 v13, 8, v14
	v_cvt_f64_f32_e32 v[1:2], v1
	v_bfe_u32 v19, v14, 20, 11
	v_lshrrev_b32_e32 v14, 16, v14
	v_cndmask_b32_e64 v12, 0, 1, vcc_lo
	v_cmp_eq_u32_e32 vcc_lo, 0x40f, v17
	v_and_b32_e32 v17, 7, v11
	s_delay_alu instid0(VALU_DEP_3)
	v_and_or_b32 v13, 0xffe, v13, v12
	v_cndmask_b32_e32 v9, v18, v9, vcc_lo
	v_sub_nc_u32_e32 v12, 0x3f1, v19
	v_mul_f64 v[7:8], v[7:8], s[10:11]
	v_cmp_lt_i32_e32 vcc_lo, 5, v17
	v_cmp_eq_u32_e64 s0, 3, v17
	v_and_or_b32 v17, 0x8000, v10, v9
	v_lshrrev_b32_e32 v9, 2, v11
	v_or_b32_e32 v22, 0x1000, v13
	v_med3_i32 v12, v12, 0, 13
	s_or_b32 vcc_lo, s0, vcc_lo
	v_add_nc_u32_e32 v19, 0xfffffc10, v19
	v_lshl_or_b32 v17, v17, 16, v20
	s_delay_alu instid0(VALU_DEP_3) | instskip(NEXT) | instid1(VALU_DEP_1)
	v_lshrrev_b32_e32 v11, v12, v22
	v_lshlrev_b32_e32 v12, v12, v11
	v_mul_f64 v[1:2], v[1:2], s[10:11]
	v_and_or_b32 v7, 0x1ff, v8, v7
	s_delay_alu instid0(VALU_DEP_2) | instskip(SKIP_2) | instid1(VALU_DEP_1)
	v_and_or_b32 v1, 0x1ff, v2, v1
	s_waitcnt vmcnt(0)
	v_mul_f16_e32 v18, v23, v21
	v_fmac_f16_e32 v18, v24, v4
	v_mul_f16_e32 v4, v23, v4
	v_lshrrev_b32_e32 v23, 8, v8
	s_delay_alu instid0(VALU_DEP_3) | instskip(SKIP_3) | instid1(VALU_DEP_4)
	v_cvt_f32_f16_e32 v10, v18
	v_add_co_ci_u32_e32 v18, vcc_lo, 0, v9, vcc_lo
	v_cmp_ne_u32_e32 vcc_lo, 0, v15
	v_fma_f16 v4, v24, v21, -v4
	v_cvt_f64_f32_e32 v[9:10], v10
	v_bfe_u32 v21, v8, 20, 11
	v_lshl_or_b32 v24, v19, 12, v13
	v_cndmask_b32_e64 v15, 0, 1, vcc_lo
	v_cmp_ne_u32_e32 vcc_lo, 0, v7
	v_cvt_f32_f16_e32 v4, v4
	v_lshrrev_b32_e32 v8, 16, v8
	s_delay_alu instid0(VALU_DEP_4) | instskip(SKIP_2) | instid1(VALU_DEP_2)
	v_lshl_or_b32 v15, v15, 9, 0x7c00
	v_cndmask_b32_e64 v7, 0, 1, vcc_lo
	v_cmp_ne_u32_e32 vcc_lo, v12, v22
	v_and_or_b32 v22, 0xffe, v23, v7
	v_cndmask_b32_e64 v12, 0, 1, vcc_lo
	v_cmp_gt_i32_e32 vcc_lo, 31, v16
	v_sub_nc_u32_e32 v7, 0x3f1, v21
	s_delay_alu instid0(VALU_DEP_4) | instskip(NEXT) | instid1(VALU_DEP_4)
	v_or_b32_e32 v25, 0x1000, v22
	v_or_b32_e32 v23, v11, v12
	v_cvt_f64_f32_e32 v[11:12], v4
	v_cndmask_b32_e32 v18, 0x7c00, v18, vcc_lo
	v_cmp_gt_i32_e32 vcc_lo, 1, v19
	v_med3_i32 v7, v7, 0, 13
	v_cndmask_b32_e32 v23, v24, v23, vcc_lo
	v_add_co_u32 v4, vcc_lo, v5, s12
	v_add_co_ci_u32_e32 v5, vcc_lo, s7, v6, vcc_lo
	s_delay_alu instid0(VALU_DEP_3) | instskip(SKIP_3) | instid1(VALU_DEP_4)
	v_and_b32_e32 v6, 7, v23
	v_cmp_eq_u32_e32 vcc_lo, 0x40f, v16
	v_lshrrev_b32_e32 v26, v7, v25
	v_add_nc_u32_e32 v16, 0xfffffc10, v21
	v_cmp_eq_u32_e64 s0, 3, v6
	v_cndmask_b32_e32 v15, v18, v15, vcc_lo
	v_cmp_lt_i32_e32 vcc_lo, 5, v6
	v_lshlrev_b32_e32 v24, v7, v26
	v_mul_f64 v[6:7], v[9:10], s[10:11]
	v_lshrrev_b32_e32 v9, 2, v23
	v_lshl_or_b32 v20, v16, 12, v22
	s_or_b32 vcc_lo, s0, vcc_lo
	v_cmp_ne_u32_e64 s1, v24, v25
	v_bfe_u32 v23, v2, 20, 11
	v_add_co_ci_u32_e32 v9, vcc_lo, 0, v9, vcc_lo
	v_cmp_ne_u32_e32 vcc_lo, 0, v13
	s_delay_alu instid0(VALU_DEP_4) | instskip(SKIP_3) | instid1(VALU_DEP_4)
	v_cndmask_b32_e64 v10, 0, 1, s1
	v_and_or_b32 v3, 0x8000, v3, v15
	v_cndmask_b32_e64 v13, 0, 1, vcc_lo
	v_cmp_gt_i32_e32 vcc_lo, 31, v19
	v_or_b32_e32 v18, v26, v10
	s_delay_alu instid0(VALU_DEP_4) | instskip(NEXT) | instid1(VALU_DEP_4)
	v_and_b32_e32 v3, 0xffff, v3
	v_lshl_or_b32 v13, v13, 9, 0x7c00
	v_cndmask_b32_e32 v21, 0x7c00, v9, vcc_lo
	v_mul_f64 v[9:10], v[11:12], s[10:11]
	v_add_co_u32 v11, vcc_lo, v4, s12
	v_add_co_ci_u32_e32 v12, vcc_lo, s7, v5, vcc_lo
	v_cmp_gt_i32_e32 vcc_lo, 1, v16
	v_cndmask_b32_e32 v18, v20, v18, vcc_lo
	v_cmp_ne_u32_e32 vcc_lo, 0, v1
	v_lshrrev_b32_e32 v20, 8, v2
	v_lshrrev_b32_e32 v2, 16, v2
	v_cndmask_b32_e64 v1, 0, 1, vcc_lo
	v_cmp_eq_u32_e32 vcc_lo, 0x40f, v19
	v_and_b32_e32 v19, 7, v18
	v_lshrrev_b32_e32 v18, 2, v18
	v_and_or_b32 v6, 0x1ff, v7, v6
	v_and_or_b32 v1, 0xffe, v20, v1
	v_cndmask_b32_e32 v13, v21, v13, vcc_lo
	v_sub_nc_u32_e32 v20, 0x3f1, v23
	v_cmp_lt_i32_e32 vcc_lo, 5, v19
	v_cmp_eq_u32_e64 s0, 3, v19
	v_bfe_u32 v21, v7, 20, 11
	v_and_or_b32 v13, 0x8000, v14, v13
	v_or_b32_e32 v14, 0x1000, v1
	v_med3_i32 v15, v20, 0, 13
	s_or_b32 vcc_lo, s0, vcc_lo
	v_lshrrev_b32_e32 v20, 8, v7
	v_add_co_ci_u32_e32 v18, vcc_lo, 0, v18, vcc_lo
	s_delay_alu instid0(VALU_DEP_3)
	v_lshrrev_b32_e32 v19, v15, v14
	v_cmp_ne_u32_e32 vcc_lo, 0, v6
	v_lshrrev_b32_e32 v7, 16, v7
	v_lshl_or_b32 v3, v13, 16, v3
	v_and_or_b32 v9, 0x1ff, v10, v9
	v_lshlrev_b32_e32 v15, v15, v19
	v_cndmask_b32_e64 v6, 0, 1, vcc_lo
	v_cmp_ne_u32_e32 vcc_lo, 0, v22
	v_lshrrev_b32_e32 v24, 8, v10
	v_bfe_u32 v25, v10, 20, 11
	s_delay_alu instid0(VALU_DEP_4)
	v_and_or_b32 v6, 0xffe, v20, v6
	v_cndmask_b32_e64 v22, 0, 1, vcc_lo
	v_cmp_ne_u32_e32 vcc_lo, v15, v14
	v_sub_nc_u32_e32 v20, 0x3f1, v21
	v_add_nc_u32_e32 v15, 0xfffffc10, v23
	v_or_b32_e32 v23, 0x1000, v6
	v_cndmask_b32_e64 v14, 0, 1, vcc_lo
	v_cmp_gt_i32_e32 vcc_lo, 31, v16
	v_med3_i32 v20, v20, 0, 13
	s_delay_alu instid0(VALU_DEP_3)
	v_or_b32_e32 v14, v19, v14
	v_cndmask_b32_e32 v18, 0x7c00, v18, vcc_lo
	v_cmp_ne_u32_e32 vcc_lo, 0, v9
	v_lshl_or_b32 v19, v15, 12, v1
	v_lshrrev_b32_e32 v26, v20, v23
	v_cndmask_b32_e64 v9, 0, 1, vcc_lo
	v_cmp_gt_i32_e32 vcc_lo, 1, v15
	s_delay_alu instid0(VALU_DEP_3) | instskip(NEXT) | instid1(VALU_DEP_3)
	v_lshlrev_b32_e32 v20, v20, v26
	v_and_or_b32 v9, 0xffe, v24, v9
	v_sub_nc_u32_e32 v24, 0x3f1, v25
	v_cndmask_b32_e32 v14, v19, v14, vcc_lo
	v_lshl_or_b32 v19, v22, 9, 0x7c00
	v_cmp_eq_u32_e32 vcc_lo, 0x40f, v16
	v_or_b32_e32 v22, 0x1000, v9
	v_med3_i32 v24, v24, 0, 13
	v_and_b32_e32 v27, 7, v14
	v_lshrrev_b32_e32 v14, 2, v14
	v_cndmask_b32_e32 v16, v18, v19, vcc_lo
	v_cmp_ne_u32_e32 vcc_lo, v20, v23
	v_add_nc_u32_e32 v19, 0xfffffc10, v21
	v_lshrrev_b32_e32 v20, v24, v22
	v_cmp_eq_u32_e64 s0, 3, v27
	v_and_or_b32 v8, 0x8000, v8, v16
	v_cndmask_b32_e64 v18, 0, 1, vcc_lo
	v_lshl_or_b32 v21, v19, 12, v6
	v_lshlrev_b32_e32 v23, v24, v20
	v_cmp_gt_i32_e64 s1, 1, v19
	v_cmp_lt_i32_e32 vcc_lo, 5, v27
	v_or_b32_e32 v18, v26, v18
	v_and_b32_e32 v8, 0xffff, v8
	s_or_b32 vcc_lo, s0, vcc_lo
	s_delay_alu instid0(VALU_DEP_2) | instskip(SKIP_3) | instid1(VALU_DEP_4)
	v_cndmask_b32_e64 v18, v21, v18, s1
	v_cmp_ne_u32_e64 s1, v23, v22
	v_add_nc_u32_e32 v22, 0xfffffc10, v25
	v_add_co_ci_u32_e32 v14, vcc_lo, 0, v14, vcc_lo
	v_and_b32_e32 v23, 7, v18
	s_delay_alu instid0(VALU_DEP_4)
	v_cndmask_b32_e64 v21, 0, 1, s1
	v_cmp_ne_u32_e32 vcc_lo, 0, v1
	v_cmp_gt_i32_e64 s0, 1, v22
	v_lshrrev_b32_e32 v18, 2, v18
	v_cmp_gt_i32_e64 s1, 31, v15
	v_or_b32_e32 v20, v20, v21
	v_lshl_or_b32 v21, v22, 12, v9
	v_cndmask_b32_e64 v1, 0, 1, vcc_lo
	v_cmp_lt_i32_e32 vcc_lo, 5, v23
	v_cndmask_b32_e64 v14, 0x7c00, v14, s1
	v_cmp_eq_u32_e64 s1, 0x40f, v15
	v_cndmask_b32_e64 v16, v21, v20, s0
	v_cmp_eq_u32_e64 s0, 3, v23
	v_lshl_or_b32 v1, v1, 9, 0x7c00
	s_delay_alu instid0(VALU_DEP_3) | instskip(NEXT) | instid1(VALU_DEP_3)
	v_and_b32_e32 v20, 7, v16
	s_or_b32 vcc_lo, s0, vcc_lo
	s_delay_alu instid0(VALU_DEP_2)
	v_cndmask_b32_e64 v1, v14, v1, s1
	v_add_co_ci_u32_e32 v18, vcc_lo, 0, v18, vcc_lo
	v_cmp_ne_u32_e32 vcc_lo, 0, v6
	v_cmp_eq_u32_e64 s0, 3, v20
	v_lshrrev_b32_e32 v14, 2, v16
	v_cmp_gt_i32_e64 s1, 31, v19
	v_and_or_b32 v13, 0x8000, v2, v1
	v_cndmask_b32_e64 v6, 0, 1, vcc_lo
	v_cmp_lt_i32_e32 vcc_lo, 5, v20
	s_delay_alu instid0(VALU_DEP_4) | instskip(NEXT) | instid1(VALU_DEP_3)
	v_cndmask_b32_e64 v15, 0x7c00, v18, s1
	v_lshl_or_b32 v6, v6, 9, 0x7c00
	s_or_b32 vcc_lo, s0, vcc_lo
	v_add_co_ci_u32_e32 v14, vcc_lo, 0, v14, vcc_lo
	v_cmp_ne_u32_e32 vcc_lo, 0, v9
	v_cndmask_b32_e64 v9, 0, 1, vcc_lo
	v_cmp_eq_u32_e32 vcc_lo, 0x40f, v19
	s_delay_alu instid0(VALU_DEP_2) | instskip(SKIP_2) | instid1(VALU_DEP_2)
	v_lshl_or_b32 v9, v9, 9, 0x7c00
	v_cndmask_b32_e32 v6, v15, v6, vcc_lo
	v_cmp_gt_i32_e32 vcc_lo, 31, v22
	v_and_or_b32 v6, 0x8000, v7, v6
	v_cndmask_b32_e32 v14, 0x7c00, v14, vcc_lo
	v_cmp_eq_u32_e32 vcc_lo, 0x40f, v22
	s_delay_alu instid0(VALU_DEP_2) | instskip(SKIP_4) | instid1(VALU_DEP_4)
	v_cndmask_b32_e32 v7, v14, v9, vcc_lo
	v_lshrrev_b32_e32 v9, 16, v10
	v_add_co_u32 v1, vcc_lo, v11, s8
	v_add_co_ci_u32_e32 v2, vcc_lo, s9, v12, vcc_lo
	v_lshl_or_b32 v10, v13, 16, v8
	v_and_or_b32 v8, 0x8000, v9, v7
	v_and_b32_e32 v9, 0xffff, v6
	v_add_co_u32 v6, vcc_lo, v1, s12
	v_add_co_ci_u32_e32 v7, vcc_lo, s7, v2, vcc_lo
	s_delay_alu instid0(VALU_DEP_3) | instskip(NEXT) | instid1(VALU_DEP_3)
	v_lshl_or_b32 v13, v8, 16, v9
	v_add_co_u32 v8, vcc_lo, v6, s12
	s_delay_alu instid0(VALU_DEP_3)
	v_add_co_ci_u32_e32 v9, vcc_lo, s7, v7, vcc_lo
	global_store_b32 v[4:5], v0, off
	global_store_b32 v[11:12], v17, off
	global_store_b32 v[1:2], v3, off
	global_store_b32 v[6:7], v10, off
	global_store_b32 v[8:9], v13, off
.LBB0_2:
	s_nop 0
	s_sendmsg sendmsg(MSG_DEALLOC_VGPRS)
	s_endpgm
	.section	.rodata,"a",@progbits
	.p2align	6, 0x0
	.amdhsa_kernel bluestein_single_fwd_len3240_dim1_half_op_CI_CI
		.amdhsa_group_segment_fixed_size 12960
		.amdhsa_private_segment_fixed_size 372
		.amdhsa_kernarg_size 104
		.amdhsa_user_sgpr_count 15
		.amdhsa_user_sgpr_dispatch_ptr 0
		.amdhsa_user_sgpr_queue_ptr 0
		.amdhsa_user_sgpr_kernarg_segment_ptr 1
		.amdhsa_user_sgpr_dispatch_id 0
		.amdhsa_user_sgpr_private_segment_size 0
		.amdhsa_wavefront_size32 1
		.amdhsa_uses_dynamic_stack 0
		.amdhsa_enable_private_segment 1
		.amdhsa_system_sgpr_workgroup_id_x 1
		.amdhsa_system_sgpr_workgroup_id_y 0
		.amdhsa_system_sgpr_workgroup_id_z 0
		.amdhsa_system_sgpr_workgroup_info 0
		.amdhsa_system_vgpr_workitem_id 0
		.amdhsa_next_free_vgpr 256
		.amdhsa_next_free_sgpr 20
		.amdhsa_reserve_vcc 1
		.amdhsa_float_round_mode_32 0
		.amdhsa_float_round_mode_16_64 0
		.amdhsa_float_denorm_mode_32 3
		.amdhsa_float_denorm_mode_16_64 3
		.amdhsa_dx10_clamp 1
		.amdhsa_ieee_mode 1
		.amdhsa_fp16_overflow 0
		.amdhsa_workgroup_processor_mode 1
		.amdhsa_memory_ordered 1
		.amdhsa_forward_progress 0
		.amdhsa_shared_vgpr_count 0
		.amdhsa_exception_fp_ieee_invalid_op 0
		.amdhsa_exception_fp_denorm_src 0
		.amdhsa_exception_fp_ieee_div_zero 0
		.amdhsa_exception_fp_ieee_overflow 0
		.amdhsa_exception_fp_ieee_underflow 0
		.amdhsa_exception_fp_ieee_inexact 0
		.amdhsa_exception_int_div_zero 0
	.end_amdhsa_kernel
	.text
.Lfunc_end0:
	.size	bluestein_single_fwd_len3240_dim1_half_op_CI_CI, .Lfunc_end0-bluestein_single_fwd_len3240_dim1_half_op_CI_CI
                                        ; -- End function
	.section	.AMDGPU.csdata,"",@progbits
; Kernel info:
; codeLenInByte = 57060
; NumSgprs: 22
; NumVgprs: 256
; ScratchSize: 372
; MemoryBound: 0
; FloatMode: 240
; IeeeMode: 1
; LDSByteSize: 12960 bytes/workgroup (compile time only)
; SGPRBlocks: 2
; VGPRBlocks: 31
; NumSGPRsForWavesPerEU: 22
; NumVGPRsForWavesPerEU: 256
; Occupancy: 5
; WaveLimiterHint : 1
; COMPUTE_PGM_RSRC2:SCRATCH_EN: 1
; COMPUTE_PGM_RSRC2:USER_SGPR: 15
; COMPUTE_PGM_RSRC2:TRAP_HANDLER: 0
; COMPUTE_PGM_RSRC2:TGID_X_EN: 1
; COMPUTE_PGM_RSRC2:TGID_Y_EN: 0
; COMPUTE_PGM_RSRC2:TGID_Z_EN: 0
; COMPUTE_PGM_RSRC2:TIDIG_COMP_CNT: 0
	.text
	.p2alignl 7, 3214868480
	.fill 96, 4, 3214868480
	.type	__hip_cuid_2e68ad1051c6335a,@object ; @__hip_cuid_2e68ad1051c6335a
	.section	.bss,"aw",@nobits
	.globl	__hip_cuid_2e68ad1051c6335a
__hip_cuid_2e68ad1051c6335a:
	.byte	0                               ; 0x0
	.size	__hip_cuid_2e68ad1051c6335a, 1

	.ident	"AMD clang version 19.0.0git (https://github.com/RadeonOpenCompute/llvm-project roc-6.4.0 25133 c7fe45cf4b819c5991fe208aaa96edf142730f1d)"
	.section	".note.GNU-stack","",@progbits
	.addrsig
	.addrsig_sym __hip_cuid_2e68ad1051c6335a
	.amdgpu_metadata
---
amdhsa.kernels:
  - .args:
      - .actual_access:  read_only
        .address_space:  global
        .offset:         0
        .size:           8
        .value_kind:     global_buffer
      - .actual_access:  read_only
        .address_space:  global
        .offset:         8
        .size:           8
        .value_kind:     global_buffer
      - .actual_access:  read_only
        .address_space:  global
        .offset:         16
        .size:           8
        .value_kind:     global_buffer
      - .actual_access:  read_only
        .address_space:  global
        .offset:         24
        .size:           8
        .value_kind:     global_buffer
      - .actual_access:  read_only
        .address_space:  global
        .offset:         32
        .size:           8
        .value_kind:     global_buffer
      - .offset:         40
        .size:           8
        .value_kind:     by_value
      - .address_space:  global
        .offset:         48
        .size:           8
        .value_kind:     global_buffer
      - .address_space:  global
        .offset:         56
        .size:           8
        .value_kind:     global_buffer
      - .address_space:  global
        .offset:         64
        .size:           8
        .value_kind:     global_buffer
      - .address_space:  global
        .offset:         72
        .size:           8
        .value_kind:     global_buffer
      - .offset:         80
        .size:           4
        .value_kind:     by_value
      - .address_space:  global
        .offset:         88
        .size:           8
        .value_kind:     global_buffer
      - .address_space:  global
        .offset:         96
        .size:           8
        .value_kind:     global_buffer
    .group_segment_fixed_size: 12960
    .kernarg_segment_align: 8
    .kernarg_segment_size: 104
    .language:       OpenCL C
    .language_version:
      - 2
      - 0
    .max_flat_workgroup_size: 108
    .name:           bluestein_single_fwd_len3240_dim1_half_op_CI_CI
    .private_segment_fixed_size: 372
    .sgpr_count:     22
    .sgpr_spill_count: 0
    .symbol:         bluestein_single_fwd_len3240_dim1_half_op_CI_CI.kd
    .uniform_work_group_size: 1
    .uses_dynamic_stack: false
    .vgpr_count:     256
    .vgpr_spill_count: 92
    .wavefront_size: 32
    .workgroup_processor_mode: 1
amdhsa.target:   amdgcn-amd-amdhsa--gfx1100
amdhsa.version:
  - 1
  - 2
...

	.end_amdgpu_metadata
